;; amdgpu-corpus repo=ROCm/rocThrust kind=compiled arch=gfx1250 opt=O3
	.amdgcn_target "amdgcn-amd-amdhsa--gfx1250"
	.amdhsa_code_object_version 6
	.section	.text._ZN6thrust23THRUST_200600_302600_NS11hip_rocprim14__parallel_for6kernelILj256ENS1_20__uninitialized_fill7functorINS0_10device_ptrIiEEiEEmLj1EEEvT0_T1_SA_,"axG",@progbits,_ZN6thrust23THRUST_200600_302600_NS11hip_rocprim14__parallel_for6kernelILj256ENS1_20__uninitialized_fill7functorINS0_10device_ptrIiEEiEEmLj1EEEvT0_T1_SA_,comdat
	.protected	_ZN6thrust23THRUST_200600_302600_NS11hip_rocprim14__parallel_for6kernelILj256ENS1_20__uninitialized_fill7functorINS0_10device_ptrIiEEiEEmLj1EEEvT0_T1_SA_ ; -- Begin function _ZN6thrust23THRUST_200600_302600_NS11hip_rocprim14__parallel_for6kernelILj256ENS1_20__uninitialized_fill7functorINS0_10device_ptrIiEEiEEmLj1EEEvT0_T1_SA_
	.globl	_ZN6thrust23THRUST_200600_302600_NS11hip_rocprim14__parallel_for6kernelILj256ENS1_20__uninitialized_fill7functorINS0_10device_ptrIiEEiEEmLj1EEEvT0_T1_SA_
	.p2align	8
	.type	_ZN6thrust23THRUST_200600_302600_NS11hip_rocprim14__parallel_for6kernelILj256ENS1_20__uninitialized_fill7functorINS0_10device_ptrIiEEiEEmLj1EEEvT0_T1_SA_,@function
_ZN6thrust23THRUST_200600_302600_NS11hip_rocprim14__parallel_for6kernelILj256ENS1_20__uninitialized_fill7functorINS0_10device_ptrIiEEiEEmLj1EEEvT0_T1_SA_: ; @_ZN6thrust23THRUST_200600_302600_NS11hip_rocprim14__parallel_for6kernelILj256ENS1_20__uninitialized_fill7functorINS0_10device_ptrIiEEiEEmLj1EEEvT0_T1_SA_
; %bb.0:
	s_load_b128 s[8:11], s[0:1], 0x10
	s_bfe_u32 s2, ttmp6, 0x4000c
	s_and_b32 s3, ttmp6, 15
	s_add_co_i32 s2, s2, 1
	s_getreg_b32 s4, hwreg(HW_REG_IB_STS2, 6, 4)
	s_mul_i32 s2, ttmp9, s2
	s_delay_alu instid0(SALU_CYCLE_1)
	s_add_co_i32 s3, s3, s2
	s_cmp_eq_u32 s4, 0
	s_load_b96 s[4:6], s[0:1], 0x0
	s_wait_xcnt 0x0
	s_cselect_b32 s0, ttmp9, s3
	s_mov_b32 s1, 0
	s_lshl_b32 s0, s0, 8
	s_wait_kmcnt 0x0
	s_add_nc_u64 s[0:1], s[10:11], s[0:1]
	s_delay_alu instid0(SALU_CYCLE_1) | instskip(NEXT) | instid1(SALU_CYCLE_1)
	s_sub_nc_u64 s[2:3], s[8:9], s[0:1]
	v_cmp_lt_u64_e64 s3, 0xff, s[2:3]
	s_and_b32 vcc_lo, exec_lo, s3
	s_mov_b32 s3, -1
	s_cbranch_vccz .LBB0_3
; %bb.1:
	s_and_not1_b32 vcc_lo, exec_lo, s3
	s_cbranch_vccz .LBB0_6
.LBB0_2:
	s_endpgm
.LBB0_3:
	v_cmp_gt_u32_e32 vcc_lo, s2, v0
	s_and_saveexec_b32 s2, vcc_lo
	s_cbranch_execz .LBB0_5
; %bb.4:
	v_mov_b32_e32 v1, s6
	s_lshl_b64 s[8:9], s[0:1], 2
	s_delay_alu instid0(SALU_CYCLE_1)
	s_add_nc_u64 s[8:9], s[4:5], s[8:9]
	flat_store_b32 v0, v1, s[8:9] scale_offset
.LBB0_5:
	s_wait_xcnt 0x0
	s_or_b32 exec_lo, exec_lo, s2
	s_cbranch_execnz .LBB0_2
.LBB0_6:
	v_mov_b32_e32 v1, s6
	s_lshl_b64 s[0:1], s[0:1], 2
	s_delay_alu instid0(SALU_CYCLE_1)
	s_add_nc_u64 s[0:1], s[4:5], s[0:1]
	flat_store_b32 v0, v1, s[0:1] scale_offset
	s_endpgm
	.section	.rodata,"a",@progbits
	.p2align	6, 0x0
	.amdhsa_kernel _ZN6thrust23THRUST_200600_302600_NS11hip_rocprim14__parallel_for6kernelILj256ENS1_20__uninitialized_fill7functorINS0_10device_ptrIiEEiEEmLj1EEEvT0_T1_SA_
		.amdhsa_group_segment_fixed_size 0
		.amdhsa_private_segment_fixed_size 0
		.amdhsa_kernarg_size 32
		.amdhsa_user_sgpr_count 2
		.amdhsa_user_sgpr_dispatch_ptr 0
		.amdhsa_user_sgpr_queue_ptr 0
		.amdhsa_user_sgpr_kernarg_segment_ptr 1
		.amdhsa_user_sgpr_dispatch_id 0
		.amdhsa_user_sgpr_kernarg_preload_length 0
		.amdhsa_user_sgpr_kernarg_preload_offset 0
		.amdhsa_user_sgpr_private_segment_size 0
		.amdhsa_wavefront_size32 1
		.amdhsa_uses_dynamic_stack 0
		.amdhsa_enable_private_segment 0
		.amdhsa_system_sgpr_workgroup_id_x 1
		.amdhsa_system_sgpr_workgroup_id_y 0
		.amdhsa_system_sgpr_workgroup_id_z 0
		.amdhsa_system_sgpr_workgroup_info 0
		.amdhsa_system_vgpr_workitem_id 0
		.amdhsa_next_free_vgpr 2
		.amdhsa_next_free_sgpr 12
		.amdhsa_named_barrier_count 0
		.amdhsa_reserve_vcc 1
		.amdhsa_float_round_mode_32 0
		.amdhsa_float_round_mode_16_64 0
		.amdhsa_float_denorm_mode_32 3
		.amdhsa_float_denorm_mode_16_64 3
		.amdhsa_fp16_overflow 0
		.amdhsa_memory_ordered 1
		.amdhsa_forward_progress 1
		.amdhsa_inst_pref_size 2
		.amdhsa_round_robin_scheduling 0
		.amdhsa_exception_fp_ieee_invalid_op 0
		.amdhsa_exception_fp_denorm_src 0
		.amdhsa_exception_fp_ieee_div_zero 0
		.amdhsa_exception_fp_ieee_overflow 0
		.amdhsa_exception_fp_ieee_underflow 0
		.amdhsa_exception_fp_ieee_inexact 0
		.amdhsa_exception_int_div_zero 0
	.end_amdhsa_kernel
	.section	.text._ZN6thrust23THRUST_200600_302600_NS11hip_rocprim14__parallel_for6kernelILj256ENS1_20__uninitialized_fill7functorINS0_10device_ptrIiEEiEEmLj1EEEvT0_T1_SA_,"axG",@progbits,_ZN6thrust23THRUST_200600_302600_NS11hip_rocprim14__parallel_for6kernelILj256ENS1_20__uninitialized_fill7functorINS0_10device_ptrIiEEiEEmLj1EEEvT0_T1_SA_,comdat
.Lfunc_end0:
	.size	_ZN6thrust23THRUST_200600_302600_NS11hip_rocprim14__parallel_for6kernelILj256ENS1_20__uninitialized_fill7functorINS0_10device_ptrIiEEiEEmLj1EEEvT0_T1_SA_, .Lfunc_end0-_ZN6thrust23THRUST_200600_302600_NS11hip_rocprim14__parallel_for6kernelILj256ENS1_20__uninitialized_fill7functorINS0_10device_ptrIiEEiEEmLj1EEEvT0_T1_SA_
                                        ; -- End function
	.set _ZN6thrust23THRUST_200600_302600_NS11hip_rocprim14__parallel_for6kernelILj256ENS1_20__uninitialized_fill7functorINS0_10device_ptrIiEEiEEmLj1EEEvT0_T1_SA_.num_vgpr, 2
	.set _ZN6thrust23THRUST_200600_302600_NS11hip_rocprim14__parallel_for6kernelILj256ENS1_20__uninitialized_fill7functorINS0_10device_ptrIiEEiEEmLj1EEEvT0_T1_SA_.num_agpr, 0
	.set _ZN6thrust23THRUST_200600_302600_NS11hip_rocprim14__parallel_for6kernelILj256ENS1_20__uninitialized_fill7functorINS0_10device_ptrIiEEiEEmLj1EEEvT0_T1_SA_.numbered_sgpr, 12
	.set _ZN6thrust23THRUST_200600_302600_NS11hip_rocprim14__parallel_for6kernelILj256ENS1_20__uninitialized_fill7functorINS0_10device_ptrIiEEiEEmLj1EEEvT0_T1_SA_.num_named_barrier, 0
	.set _ZN6thrust23THRUST_200600_302600_NS11hip_rocprim14__parallel_for6kernelILj256ENS1_20__uninitialized_fill7functorINS0_10device_ptrIiEEiEEmLj1EEEvT0_T1_SA_.private_seg_size, 0
	.set _ZN6thrust23THRUST_200600_302600_NS11hip_rocprim14__parallel_for6kernelILj256ENS1_20__uninitialized_fill7functorINS0_10device_ptrIiEEiEEmLj1EEEvT0_T1_SA_.uses_vcc, 1
	.set _ZN6thrust23THRUST_200600_302600_NS11hip_rocprim14__parallel_for6kernelILj256ENS1_20__uninitialized_fill7functorINS0_10device_ptrIiEEiEEmLj1EEEvT0_T1_SA_.uses_flat_scratch, 0
	.set _ZN6thrust23THRUST_200600_302600_NS11hip_rocprim14__parallel_for6kernelILj256ENS1_20__uninitialized_fill7functorINS0_10device_ptrIiEEiEEmLj1EEEvT0_T1_SA_.has_dyn_sized_stack, 0
	.set _ZN6thrust23THRUST_200600_302600_NS11hip_rocprim14__parallel_for6kernelILj256ENS1_20__uninitialized_fill7functorINS0_10device_ptrIiEEiEEmLj1EEEvT0_T1_SA_.has_recursion, 0
	.set _ZN6thrust23THRUST_200600_302600_NS11hip_rocprim14__parallel_for6kernelILj256ENS1_20__uninitialized_fill7functorINS0_10device_ptrIiEEiEEmLj1EEEvT0_T1_SA_.has_indirect_call, 0
	.section	.AMDGPU.csdata,"",@progbits
; Kernel info:
; codeLenInByte = 204
; TotalNumSgprs: 14
; NumVgprs: 2
; ScratchSize: 0
; MemoryBound: 0
; FloatMode: 240
; IeeeMode: 1
; LDSByteSize: 0 bytes/workgroup (compile time only)
; SGPRBlocks: 0
; VGPRBlocks: 0
; NumSGPRsForWavesPerEU: 14
; NumVGPRsForWavesPerEU: 2
; NamedBarCnt: 0
; Occupancy: 16
; WaveLimiterHint : 0
; COMPUTE_PGM_RSRC2:SCRATCH_EN: 0
; COMPUTE_PGM_RSRC2:USER_SGPR: 2
; COMPUTE_PGM_RSRC2:TRAP_HANDLER: 0
; COMPUTE_PGM_RSRC2:TGID_X_EN: 1
; COMPUTE_PGM_RSRC2:TGID_Y_EN: 0
; COMPUTE_PGM_RSRC2:TGID_Z_EN: 0
; COMPUTE_PGM_RSRC2:TIDIG_COMP_CNT: 0
	.section	.text._ZN7rocprim17ROCPRIM_400000_NS6detail17trampoline_kernelINS0_14default_configENS1_22reduce_config_selectorI11minmax_pairIiEEEZNS1_11reduce_implILb1ES3_PS6_S9_S6_16minmax_binary_opIiEEE10hipError_tPvRmT1_T2_T3_mT4_P12ihipStream_tbEUlT_E0_NS1_11comp_targetILNS1_3genE0ELNS1_11target_archE4294967295ELNS1_3gpuE0ELNS1_3repE0EEENS1_30default_config_static_selectorELNS0_4arch9wavefront6targetE0EEEvSF_,"axG",@progbits,_ZN7rocprim17ROCPRIM_400000_NS6detail17trampoline_kernelINS0_14default_configENS1_22reduce_config_selectorI11minmax_pairIiEEEZNS1_11reduce_implILb1ES3_PS6_S9_S6_16minmax_binary_opIiEEE10hipError_tPvRmT1_T2_T3_mT4_P12ihipStream_tbEUlT_E0_NS1_11comp_targetILNS1_3genE0ELNS1_11target_archE4294967295ELNS1_3gpuE0ELNS1_3repE0EEENS1_30default_config_static_selectorELNS0_4arch9wavefront6targetE0EEEvSF_,comdat
	.protected	_ZN7rocprim17ROCPRIM_400000_NS6detail17trampoline_kernelINS0_14default_configENS1_22reduce_config_selectorI11minmax_pairIiEEEZNS1_11reduce_implILb1ES3_PS6_S9_S6_16minmax_binary_opIiEEE10hipError_tPvRmT1_T2_T3_mT4_P12ihipStream_tbEUlT_E0_NS1_11comp_targetILNS1_3genE0ELNS1_11target_archE4294967295ELNS1_3gpuE0ELNS1_3repE0EEENS1_30default_config_static_selectorELNS0_4arch9wavefront6targetE0EEEvSF_ ; -- Begin function _ZN7rocprim17ROCPRIM_400000_NS6detail17trampoline_kernelINS0_14default_configENS1_22reduce_config_selectorI11minmax_pairIiEEEZNS1_11reduce_implILb1ES3_PS6_S9_S6_16minmax_binary_opIiEEE10hipError_tPvRmT1_T2_T3_mT4_P12ihipStream_tbEUlT_E0_NS1_11comp_targetILNS1_3genE0ELNS1_11target_archE4294967295ELNS1_3gpuE0ELNS1_3repE0EEENS1_30default_config_static_selectorELNS0_4arch9wavefront6targetE0EEEvSF_
	.globl	_ZN7rocprim17ROCPRIM_400000_NS6detail17trampoline_kernelINS0_14default_configENS1_22reduce_config_selectorI11minmax_pairIiEEEZNS1_11reduce_implILb1ES3_PS6_S9_S6_16minmax_binary_opIiEEE10hipError_tPvRmT1_T2_T3_mT4_P12ihipStream_tbEUlT_E0_NS1_11comp_targetILNS1_3genE0ELNS1_11target_archE4294967295ELNS1_3gpuE0ELNS1_3repE0EEENS1_30default_config_static_selectorELNS0_4arch9wavefront6targetE0EEEvSF_
	.p2align	8
	.type	_ZN7rocprim17ROCPRIM_400000_NS6detail17trampoline_kernelINS0_14default_configENS1_22reduce_config_selectorI11minmax_pairIiEEEZNS1_11reduce_implILb1ES3_PS6_S9_S6_16minmax_binary_opIiEEE10hipError_tPvRmT1_T2_T3_mT4_P12ihipStream_tbEUlT_E0_NS1_11comp_targetILNS1_3genE0ELNS1_11target_archE4294967295ELNS1_3gpuE0ELNS1_3repE0EEENS1_30default_config_static_selectorELNS0_4arch9wavefront6targetE0EEEvSF_,@function
_ZN7rocprim17ROCPRIM_400000_NS6detail17trampoline_kernelINS0_14default_configENS1_22reduce_config_selectorI11minmax_pairIiEEEZNS1_11reduce_implILb1ES3_PS6_S9_S6_16minmax_binary_opIiEEE10hipError_tPvRmT1_T2_T3_mT4_P12ihipStream_tbEUlT_E0_NS1_11comp_targetILNS1_3genE0ELNS1_11target_archE4294967295ELNS1_3gpuE0ELNS1_3repE0EEENS1_30default_config_static_selectorELNS0_4arch9wavefront6targetE0EEEvSF_: ; @_ZN7rocprim17ROCPRIM_400000_NS6detail17trampoline_kernelINS0_14default_configENS1_22reduce_config_selectorI11minmax_pairIiEEEZNS1_11reduce_implILb1ES3_PS6_S9_S6_16minmax_binary_opIiEEE10hipError_tPvRmT1_T2_T3_mT4_P12ihipStream_tbEUlT_E0_NS1_11comp_targetILNS1_3genE0ELNS1_11target_archE4294967295ELNS1_3gpuE0ELNS1_3repE0EEENS1_30default_config_static_selectorELNS0_4arch9wavefront6targetE0EEEvSF_
; %bb.0:
	s_clause 0x1
	s_load_b256 s[12:19], s[0:1], 0x0
	s_load_b128 s[20:23], s[0:1], 0x20
	s_bfe_u32 s2, ttmp6, 0x4000c
	s_and_b32 s4, ttmp6, 15
	s_add_co_i32 s2, s2, 1
	s_getreg_b32 s6, hwreg(HW_REG_IB_STS2, 6, 4)
	s_mul_i32 s2, ttmp9, s2
	s_mov_b32 s3, 0
	s_add_co_i32 s2, s4, s2
	v_mbcnt_lo_u32_b32 v1, -1, 0
	s_wait_kmcnt 0x0
	s_lshl_b64 s[4:5], s[14:15], 3
	s_cmp_eq_u32 s6, 0
	s_mov_b32 s15, s3
	s_cselect_b32 s14, ttmp9, s2
	s_add_nc_u64 s[4:5], s[12:13], s[4:5]
	s_lshl_b32 s2, s14, 12
	s_lshr_b64 s[6:7], s[16:17], 12
	s_lshl_b64 s[8:9], s[2:3], 3
	s_cmp_lg_u64 s[6:7], s[14:15]
	s_add_nc_u64 s[26:27], s[4:5], s[8:9]
	s_cbranch_scc0 .LBB1_6
; %bb.1:
	s_clause 0xf
	global_load_b64 v[2:3], v0, s[26:27] scale_offset
	global_load_b64 v[4:5], v0, s[26:27] offset:2048 scale_offset
	global_load_b64 v[6:7], v0, s[26:27] offset:4096 scale_offset
	;; [unrolled: 1-line block ×15, first 2 shown]
	s_mov_b32 s3, exec_lo
	s_wait_loadcnt 0xe
	v_min_i32_e32 v2, v4, v2
	v_max_i32_e32 v3, v3, v5
	s_wait_loadcnt 0xc
	s_delay_alu instid0(VALU_DEP_2) | instskip(NEXT) | instid1(VALU_DEP_2)
	v_min3_i32 v2, v8, v6, v2
	v_max3_i32 v3, v3, v7, v9
	v_mov_b32_e32 v6, 0
	s_wait_loadcnt 0xa
	s_delay_alu instid0(VALU_DEP_3) | instskip(NEXT) | instid1(VALU_DEP_3)
	v_min3_i32 v2, v12, v10, v2
	v_max3_i32 v3, v3, v11, v13
	s_wait_loadcnt 0x8
	s_delay_alu instid0(VALU_DEP_2) | instskip(NEXT) | instid1(VALU_DEP_2)
	v_min3_i32 v2, v16, v14, v2
	v_max3_i32 v3, v3, v15, v17
	s_wait_loadcnt 0x6
	s_delay_alu instid0(VALU_DEP_2) | instskip(NEXT) | instid1(VALU_DEP_2)
	;; [unrolled: 4-line block ×5, first 2 shown]
	v_min3_i32 v2, v32, v30, v2
	v_max3_i32 v3, v3, v31, v33
	s_delay_alu instid0(VALU_DEP_2) | instskip(NEXT) | instid1(VALU_DEP_2)
	v_mov_b32_dpp v4, v2 quad_perm:[1,0,3,2] row_mask:0xf bank_mask:0xf
	v_mov_b32_dpp v5, v3 quad_perm:[1,0,3,2] row_mask:0xf bank_mask:0xf
	s_delay_alu instid0(VALU_DEP_2) | instskip(NEXT) | instid1(VALU_DEP_2)
	v_min_i32_e32 v2, v2, v4
	v_max_i32_e32 v3, v5, v3
	s_delay_alu instid0(VALU_DEP_2) | instskip(NEXT) | instid1(VALU_DEP_2)
	v_mov_b32_dpp v4, v2 quad_perm:[2,3,0,1] row_mask:0xf bank_mask:0xf
	v_mov_b32_dpp v5, v3 quad_perm:[2,3,0,1] row_mask:0xf bank_mask:0xf
	s_delay_alu instid0(VALU_DEP_2) | instskip(NEXT) | instid1(VALU_DEP_2)
	v_min_i32_e32 v2, v2, v4
	v_max_i32_e32 v3, v5, v3
	s_delay_alu instid0(VALU_DEP_2) | instskip(NEXT) | instid1(VALU_DEP_2)
	v_mov_b32_dpp v4, v2 row_ror:4 row_mask:0xf bank_mask:0xf
	v_mov_b32_dpp v5, v3 row_ror:4 row_mask:0xf bank_mask:0xf
	s_delay_alu instid0(VALU_DEP_2) | instskip(NEXT) | instid1(VALU_DEP_2)
	v_min_i32_e32 v2, v2, v4
	v_max_i32_e32 v3, v5, v3
	s_delay_alu instid0(VALU_DEP_2) | instskip(NEXT) | instid1(VALU_DEP_2)
	v_mov_b32_dpp v4, v2 row_ror:8 row_mask:0xf bank_mask:0xf
	v_mov_b32_dpp v5, v3 row_ror:8 row_mask:0xf bank_mask:0xf
	s_delay_alu instid0(VALU_DEP_2) | instskip(NEXT) | instid1(VALU_DEP_2)
	v_min_i32_e32 v2, v2, v4
	v_max_i32_e32 v3, v5, v3
	ds_swizzle_b32 v4, v2 offset:swizzle(BROADCAST,32,15)
	ds_swizzle_b32 v5, v3 offset:swizzle(BROADCAST,32,15)
	s_wait_dscnt 0x1
	v_min_i32_e32 v2, v2, v4
	s_wait_dscnt 0x0
	v_max_i32_e32 v3, v5, v3
	ds_bpermute_b32 v2, v6, v2 offset:124
	ds_bpermute_b32 v3, v6, v3 offset:124
	v_cmpx_eq_u32_e32 0, v1
	s_cbranch_execz .LBB1_3
; %bb.2:
	v_lshrrev_b32_e32 v4, 2, v0
	s_delay_alu instid0(VALU_DEP_1)
	v_and_b32_e32 v4, 56, v4
	s_wait_dscnt 0x0
	ds_store_b64 v4, v[2:3] offset:64
.LBB1_3:
	s_or_b32 exec_lo, exec_lo, s3
	s_delay_alu instid0(SALU_CYCLE_1)
	s_mov_b32 s3, exec_lo
	s_wait_dscnt 0x0
	s_barrier_signal -1
	s_barrier_wait -1
	v_cmpx_gt_u32_e32 32, v0
	s_cbranch_execz .LBB1_5
; %bb.4:
	v_and_b32_e32 v4, 7, v1
	s_delay_alu instid0(VALU_DEP_1) | instskip(SKIP_1) | instid1(VALU_DEP_1)
	v_cmp_ne_u32_e32 vcc_lo, 7, v4
	v_add_co_ci_u32_e64 v5, null, 0, v1, vcc_lo
	v_dual_lshlrev_b32 v2, 3, v4 :: v_dual_lshlrev_b32 v5, 2, v5
	ds_load_b64 v[2:3], v2 offset:64
	s_wait_dscnt 0x0
	ds_bpermute_b32 v6, v5, v2
	ds_bpermute_b32 v5, v5, v3
	s_wait_dscnt 0x1
	v_dual_lshlrev_b32 v6, 2, v1 :: v_dual_min_i32 v2, v6, v2
	v_cmp_gt_u32_e32 vcc_lo, 6, v4
	s_wait_dscnt 0x0
	v_max_i32_e32 v3, v3, v5
	s_delay_alu instid0(VALU_DEP_3) | instskip(SKIP_1) | instid1(VALU_DEP_1)
	v_or_b32_e32 v6, 16, v6
	v_cndmask_b32_e64 v4, 0, 2, vcc_lo
	v_add_lshl_u32 v4, v4, v1, 2
	ds_bpermute_b32 v5, v4, v2
	ds_bpermute_b32 v4, v4, v3
	s_wait_dscnt 0x1
	v_min_i32_e32 v2, v5, v2
	s_wait_dscnt 0x0
	v_max_i32_e32 v3, v3, v4
	ds_bpermute_b32 v4, v6, v2
	ds_bpermute_b32 v5, v6, v3
	s_wait_dscnt 0x1
	v_min_i32_e32 v2, v4, v2
	s_wait_dscnt 0x0
	v_max_i32_e32 v3, v3, v5
.LBB1_5:
	s_or_b32 exec_lo, exec_lo, s3
	s_load_b64 s[24:25], s[0:1], 0x30
	s_branch .LBB1_44
.LBB1_6:
                                        ; implicit-def: $vgpr3
	s_load_b64 s[24:25], s[0:1], 0x30
	s_cbranch_execz .LBB1_44
; %bb.7:
	s_sub_co_i32 s28, s16, s2
	s_wait_xcnt 0x0
	s_mov_b32 s0, exec_lo
                                        ; implicit-def: $vgpr2_vgpr3
	v_cmpx_gt_u32_e64 s28, v0
	s_cbranch_execz .LBB1_9
; %bb.8:
	global_load_b64 v[2:3], v0, s[26:27] scale_offset
.LBB1_9:
	s_wait_xcnt 0x0
	s_or_b32 exec_lo, exec_lo, s0
	v_or_b32_e32 v4, 0x100, v0
	s_delay_alu instid0(VALU_DEP_1)
	v_cmp_gt_u32_e32 vcc_lo, s28, v4
                                        ; implicit-def: $vgpr4_vgpr5
	s_and_saveexec_b32 s0, vcc_lo
	s_cbranch_execz .LBB1_11
; %bb.10:
	global_load_b64 v[4:5], v0, s[26:27] offset:2048 scale_offset
.LBB1_11:
	s_wait_xcnt 0x0
	s_or_b32 exec_lo, exec_lo, s0
	v_or_b32_e32 v6, 0x200, v0
	s_delay_alu instid0(VALU_DEP_1)
	v_cmp_gt_u32_e64 s0, s28, v6
                                        ; implicit-def: $vgpr6_vgpr7
	s_and_saveexec_b32 s1, s0
	s_cbranch_execz .LBB1_13
; %bb.12:
	global_load_b64 v[6:7], v0, s[26:27] offset:4096 scale_offset
.LBB1_13:
	s_wait_xcnt 0x0
	s_or_b32 exec_lo, exec_lo, s1
	v_or_b32_e32 v8, 0x300, v0
	s_delay_alu instid0(VALU_DEP_1)
	v_cmp_gt_u32_e64 s1, s28, v8
                                        ; implicit-def: $vgpr8_vgpr9
	s_and_saveexec_b32 s2, s1
	s_cbranch_execz .LBB1_15
; %bb.14:
	global_load_b64 v[8:9], v0, s[26:27] offset:6144 scale_offset
.LBB1_15:
	s_wait_xcnt 0x0
	s_or_b32 exec_lo, exec_lo, s2
	v_or_b32_e32 v10, 0x400, v0
	s_delay_alu instid0(VALU_DEP_1)
	v_cmp_gt_u32_e64 s2, s28, v10
                                        ; implicit-def: $vgpr10_vgpr11
	s_and_saveexec_b32 s3, s2
	s_cbranch_execz .LBB1_17
; %bb.16:
	global_load_b64 v[10:11], v0, s[26:27] offset:8192 scale_offset
.LBB1_17:
	s_wait_xcnt 0x0
	s_or_b32 exec_lo, exec_lo, s3
	v_or_b32_e32 v12, 0x500, v0
	s_delay_alu instid0(VALU_DEP_1)
	v_cmp_gt_u32_e64 s3, s28, v12
                                        ; implicit-def: $vgpr12_vgpr13
	s_and_saveexec_b32 s4, s3
	s_cbranch_execz .LBB1_19
; %bb.18:
	global_load_b64 v[12:13], v0, s[26:27] offset:10240 scale_offset
.LBB1_19:
	s_wait_xcnt 0x0
	s_or_b32 exec_lo, exec_lo, s4
	v_or_b32_e32 v14, 0x600, v0
	s_delay_alu instid0(VALU_DEP_1)
	v_cmp_gt_u32_e64 s4, s28, v14
                                        ; implicit-def: $vgpr14_vgpr15
	s_and_saveexec_b32 s5, s4
	s_cbranch_execz .LBB1_21
; %bb.20:
	global_load_b64 v[14:15], v0, s[26:27] offset:12288 scale_offset
.LBB1_21:
	s_wait_xcnt 0x0
	s_or_b32 exec_lo, exec_lo, s5
	v_or_b32_e32 v16, 0x700, v0
	s_delay_alu instid0(VALU_DEP_1)
	v_cmp_gt_u32_e64 s5, s28, v16
                                        ; implicit-def: $vgpr16_vgpr17
	s_and_saveexec_b32 s6, s5
	s_cbranch_execz .LBB1_23
; %bb.22:
	global_load_b64 v[16:17], v0, s[26:27] offset:14336 scale_offset
.LBB1_23:
	s_wait_xcnt 0x0
	s_or_b32 exec_lo, exec_lo, s6
	v_or_b32_e32 v18, 0x800, v0
	s_delay_alu instid0(VALU_DEP_1)
	v_cmp_gt_u32_e64 s6, s28, v18
                                        ; implicit-def: $vgpr18_vgpr19
	s_and_saveexec_b32 s7, s6
	s_cbranch_execz .LBB1_25
; %bb.24:
	global_load_b64 v[18:19], v0, s[26:27] offset:16384 scale_offset
.LBB1_25:
	s_wait_xcnt 0x0
	s_or_b32 exec_lo, exec_lo, s7
	v_or_b32_e32 v20, 0x900, v0
	s_delay_alu instid0(VALU_DEP_1)
	v_cmp_gt_u32_e64 s7, s28, v20
                                        ; implicit-def: $vgpr20_vgpr21
	s_and_saveexec_b32 s8, s7
	s_cbranch_execz .LBB1_27
; %bb.26:
	global_load_b64 v[20:21], v0, s[26:27] offset:18432 scale_offset
.LBB1_27:
	s_wait_xcnt 0x0
	s_or_b32 exec_lo, exec_lo, s8
	v_or_b32_e32 v22, 0xa00, v0
	s_delay_alu instid0(VALU_DEP_1)
	v_cmp_gt_u32_e64 s8, s28, v22
                                        ; implicit-def: $vgpr22_vgpr23
	s_and_saveexec_b32 s9, s8
	s_cbranch_execz .LBB1_29
; %bb.28:
	global_load_b64 v[22:23], v0, s[26:27] offset:20480 scale_offset
.LBB1_29:
	s_wait_xcnt 0x0
	s_or_b32 exec_lo, exec_lo, s9
	v_or_b32_e32 v24, 0xb00, v0
	s_delay_alu instid0(VALU_DEP_1)
	v_cmp_gt_u32_e64 s9, s28, v24
                                        ; implicit-def: $vgpr24_vgpr25
	s_and_saveexec_b32 s10, s9
	s_cbranch_execz .LBB1_31
; %bb.30:
	global_load_b64 v[24:25], v0, s[26:27] offset:22528 scale_offset
.LBB1_31:
	s_wait_xcnt 0x0
	s_or_b32 exec_lo, exec_lo, s10
	v_or_b32_e32 v26, 0xc00, v0
	s_delay_alu instid0(VALU_DEP_1)
	v_cmp_gt_u32_e64 s10, s28, v26
                                        ; implicit-def: $vgpr26_vgpr27
	s_and_saveexec_b32 s11, s10
	s_cbranch_execz .LBB1_33
; %bb.32:
	global_load_b64 v[26:27], v0, s[26:27] offset:24576 scale_offset
.LBB1_33:
	s_wait_xcnt 0x0
	s_or_b32 exec_lo, exec_lo, s11
	v_or_b32_e32 v28, 0xd00, v0
	s_delay_alu instid0(VALU_DEP_1)
	v_cmp_gt_u32_e64 s11, s28, v28
                                        ; implicit-def: $vgpr28_vgpr29
	s_and_saveexec_b32 s12, s11
	s_cbranch_execz .LBB1_35
; %bb.34:
	global_load_b64 v[28:29], v0, s[26:27] offset:26624 scale_offset
.LBB1_35:
	s_wait_xcnt 0x0
	s_or_b32 exec_lo, exec_lo, s12
	v_or_b32_e32 v30, 0xe00, v0
	s_delay_alu instid0(VALU_DEP_1)
	v_cmp_gt_u32_e64 s13, s28, v30
                                        ; implicit-def: $vgpr30_vgpr31
	s_and_saveexec_b32 s12, s13
	s_cbranch_execz .LBB1_37
; %bb.36:
	global_load_b64 v[30:31], v0, s[26:27] offset:28672 scale_offset
.LBB1_37:
	s_wait_xcnt 0x0
	s_or_b32 exec_lo, exec_lo, s12
	v_or_b32_e32 v32, 0xf00, v0
	s_delay_alu instid0(VALU_DEP_1)
	v_cmp_gt_u32_e64 s12, s28, v32
                                        ; implicit-def: $vgpr32_vgpr33
	s_and_saveexec_b32 s29, s12
	s_cbranch_execz .LBB1_39
; %bb.38:
	global_load_b64 v[32:33], v0, s[26:27] offset:30720 scale_offset
.LBB1_39:
	s_wait_xcnt 0x0
	s_or_b32 exec_lo, exec_lo, s29
	s_wait_loadcnt 0x0
	v_max_i32_e32 v5, v3, v5
	s_delay_alu instid0(VALU_DEP_1) | instskip(NEXT) | instid1(VALU_DEP_1)
	v_dual_cndmask_b32 v3, v3, v5 :: v_dual_min_i32 v4, v4, v2
	v_cndmask_b32_e32 v2, v2, v4, vcc_lo
	v_cmp_ne_u32_e32 vcc_lo, 31, v1
	s_delay_alu instid0(VALU_DEP_3) | instskip(NEXT) | instid1(VALU_DEP_1)
	v_max_i32_e32 v5, v3, v7
	v_dual_cndmask_b32 v3, v3, v5, s0 :: v_dual_min_i32 v4, v6, v2
	s_delay_alu instid0(VALU_DEP_1) | instskip(SKIP_1) | instid1(VALU_DEP_2)
	v_cndmask_b32_e64 v2, v2, v4, s0
	s_min_u32 s0, s28, 0x100
	v_max_i32_e32 v5, v3, v9
	s_delay_alu instid0(VALU_DEP_1) | instskip(NEXT) | instid1(VALU_DEP_1)
	v_dual_cndmask_b32 v3, v3, v5, s1 :: v_dual_min_i32 v4, v8, v2
	v_cndmask_b32_e64 v2, v2, v4, s1
	s_mov_b32 s1, exec_lo
	s_delay_alu instid0(VALU_DEP_2) | instskip(NEXT) | instid1(VALU_DEP_1)
	v_max_i32_e32 v5, v3, v11
	v_dual_cndmask_b32 v3, v3, v5, s2 :: v_dual_min_i32 v4, v10, v2
	s_delay_alu instid0(VALU_DEP_1) | instskip(NEXT) | instid1(VALU_DEP_1)
	v_dual_cndmask_b32 v2, v2, v4, s2 :: v_dual_max_i32 v5, v3, v13
	v_dual_cndmask_b32 v3, v3, v5, s3 :: v_dual_min_i32 v4, v12, v2
	s_delay_alu instid0(VALU_DEP_1) | instskip(NEXT) | instid1(VALU_DEP_1)
	v_dual_cndmask_b32 v2, v2, v4, s3 :: v_dual_max_i32 v5, v3, v15
	;; [unrolled: 3-line block ×10, first 2 shown]
	v_dual_cndmask_b32 v3, v3, v5, s13 :: v_dual_min_i32 v4, v30, v2
	s_delay_alu instid0(VALU_DEP_1) | instskip(SKIP_2) | instid1(VALU_DEP_4)
	v_cndmask_b32_e64 v2, v2, v4, s13
	v_add_co_ci_u32_e64 v4, null, 0, v1, vcc_lo
	v_cmp_gt_u32_e32 vcc_lo, 30, v1
	v_max_i32_e32 v6, v3, v33
	s_delay_alu instid0(VALU_DEP_3) | instskip(SKIP_1) | instid1(VALU_DEP_2)
	v_dual_lshlrev_b32 v4, 2, v4 :: v_dual_min_i32 v5, v32, v2
	v_cndmask_b32_e64 v8, 0, 2, vcc_lo
	v_dual_cndmask_b32 v3, v3, v6, s12 :: v_dual_cndmask_b32 v2, v2, v5, s12
	v_and_b32_e32 v6, 0xe0, v0
	ds_bpermute_b32 v5, v4, v2
	ds_bpermute_b32 v4, v4, v3
	v_add_nc_u32_e32 v7, 1, v1
	v_sub_nc_u32_e64 v6, s0, v6 clamp
	s_wait_dscnt 0x1
	v_min_i32_e32 v5, v5, v2
	s_delay_alu instid0(VALU_DEP_2) | instskip(SKIP_3) | instid1(VALU_DEP_2)
	v_cmp_lt_u32_e32 vcc_lo, v7, v6
	s_wait_dscnt 0x0
	v_max_i32_e32 v4, v3, v4
	v_add_lshl_u32 v7, v8, v1, 2
	v_dual_cndmask_b32 v2, v2, v5 :: v_dual_cndmask_b32 v3, v3, v4
	v_cmp_gt_u32_e32 vcc_lo, 28, v1
	ds_bpermute_b32 v4, v7, v2
	ds_bpermute_b32 v5, v7, v3
	v_add_nc_u32_e32 v7, 2, v1
	v_cndmask_b32_e64 v8, 0, 4, vcc_lo
	s_wait_dscnt 0x1
	v_min_i32_e32 v4, v4, v2
	s_delay_alu instid0(VALU_DEP_3)
	v_cmp_lt_u32_e32 vcc_lo, v7, v6
	s_wait_dscnt 0x0
	v_max_i32_e32 v5, v3, v5
	v_add_lshl_u32 v7, v8, v1, 2
	v_cndmask_b32_e32 v2, v2, v4, vcc_lo
	ds_bpermute_b32 v4, v7, v2
	v_cndmask_b32_e32 v3, v3, v5, vcc_lo
	v_cmp_gt_u32_e32 vcc_lo, 24, v1
	v_cndmask_b32_e64 v8, 0, 8, vcc_lo
	s_wait_dscnt 0x0
	v_min_i32_e32 v4, v4, v2
	ds_bpermute_b32 v5, v7, v3
	v_add_nc_u32_e32 v7, 4, v1
	s_delay_alu instid0(VALU_DEP_1)
	v_cmp_lt_u32_e32 vcc_lo, v7, v6
	v_add_lshl_u32 v7, v8, v1, 2
	v_dual_add_nc_u32 v8, 8, v1 :: v_dual_cndmask_b32 v2, v2, v4, vcc_lo
	v_lshlrev_b32_e32 v4, 2, v1
	s_wait_dscnt 0x0
	v_max_i32_e32 v5, v3, v5
	s_delay_alu instid0(VALU_DEP_1)
	v_cndmask_b32_e32 v3, v3, v5, vcc_lo
	ds_bpermute_b32 v5, v7, v2
	v_cmp_lt_u32_e32 vcc_lo, v8, v6
	s_wait_dscnt 0x0
	v_min_i32_e32 v5, v5, v2
	ds_bpermute_b32 v7, v7, v3
	v_dual_cndmask_b32 v2, v2, v5, vcc_lo :: v_dual_bitop2_b32 v8, 64, v4 bitop3:0x54
	s_wait_dscnt 0x0
	v_max_i32_e32 v7, v3, v7
	s_delay_alu instid0(VALU_DEP_1) | instskip(SKIP_4) | instid1(VALU_DEP_1)
	v_cndmask_b32_e32 v3, v3, v7, vcc_lo
	ds_bpermute_b32 v7, v8, v2
	ds_bpermute_b32 v5, v8, v3
	s_wait_dscnt 0x1
	v_dual_add_nc_u32 v8, 16, v1 :: v_dual_min_i32 v7, v7, v2
	v_cmp_lt_u32_e32 vcc_lo, v8, v6
	s_wait_dscnt 0x0
	s_delay_alu instid0(VALU_DEP_2) | instskip(NEXT) | instid1(VALU_DEP_1)
	v_dual_cndmask_b32 v2, v2, v7 :: v_dual_max_i32 v5, v3, v5
	v_cndmask_b32_e32 v3, v3, v5, vcc_lo
	v_cmpx_eq_u32_e32 0, v1
; %bb.40:
	v_lshrrev_b32_e32 v5, 2, v0
	s_delay_alu instid0(VALU_DEP_1)
	v_and_b32_e32 v5, 56, v5
	ds_store_b64 v5, v[2:3]
; %bb.41:
	s_or_b32 exec_lo, exec_lo, s1
	s_delay_alu instid0(SALU_CYCLE_1)
	s_mov_b32 s1, exec_lo
	s_wait_dscnt 0x0
	s_barrier_signal -1
	s_barrier_wait -1
	v_cmpx_gt_u32_e32 8, v0
	s_cbranch_execz .LBB1_43
; %bb.42:
	v_dual_lshlrev_b32 v2, 3, v1 :: v_dual_bitop2_b32 v5, 7, v1 bitop3:0x40
	s_add_co_i32 s0, s0, 31
	s_delay_alu instid0(SALU_CYCLE_1)
	s_lshr_b32 s0, s0, 5
	ds_load_b64 v[2:3], v2
	v_cmp_ne_u32_e32 vcc_lo, 7, v5
	v_add_nc_u32_e32 v8, 1, v5
	v_add_co_ci_u32_e64 v6, null, 0, v1, vcc_lo
	v_cmp_gt_u32_e32 vcc_lo, 6, v5
	s_delay_alu instid0(VALU_DEP_2) | instskip(SKIP_2) | instid1(VALU_DEP_2)
	v_lshlrev_b32_e32 v6, 2, v6
	v_cndmask_b32_e64 v9, 0, 2, vcc_lo
	v_cmp_gt_u32_e32 vcc_lo, s0, v8
	v_add_lshl_u32 v1, v9, v1, 2
	s_wait_dscnt 0x0
	ds_bpermute_b32 v7, v6, v2
	ds_bpermute_b32 v6, v6, v3
	s_wait_dscnt 0x1
	v_min_i32_e32 v7, v7, v2
	s_wait_dscnt 0x0
	s_delay_alu instid0(VALU_DEP_1) | instskip(NEXT) | instid1(VALU_DEP_1)
	v_dual_cndmask_b32 v2, v2, v7, vcc_lo :: v_dual_max_i32 v6, v3, v6
	v_dual_cndmask_b32 v3, v3, v6, vcc_lo :: v_dual_add_nc_u32 v7, 2, v5
	v_add_nc_u32_e32 v5, 4, v5
	ds_bpermute_b32 v6, v1, v2
	ds_bpermute_b32 v1, v1, v3
	v_cmp_gt_u32_e32 vcc_lo, s0, v7
	s_wait_dscnt 0x0
	v_max_i32_e32 v1, v3, v1
	s_delay_alu instid0(VALU_DEP_1) | instskip(NEXT) | instid1(VALU_DEP_1)
	v_dual_cndmask_b32 v1, v3, v1 :: v_dual_min_i32 v6, v6, v2
	v_cndmask_b32_e32 v2, v2, v6, vcc_lo
	v_cmp_gt_u32_e32 vcc_lo, s0, v5
	v_or_b32_e32 v4, 16, v4
	ds_bpermute_b32 v3, v4, v1
	s_wait_dscnt 0x0
	v_max_i32_e32 v3, v1, v3
	s_delay_alu instid0(VALU_DEP_1) | instskip(SKIP_3) | instid1(VALU_DEP_1)
	v_cndmask_b32_e32 v3, v1, v3, vcc_lo
	ds_bpermute_b32 v4, v4, v2
	s_wait_dscnt 0x0
	v_min_i32_e32 v4, v4, v2
	v_cndmask_b32_e32 v2, v2, v4, vcc_lo
.LBB1_43:
	s_or_b32 exec_lo, exec_lo, s1
.LBB1_44:
	s_wait_xcnt 0x0
	s_mov_b32 s0, exec_lo
	v_cmpx_eq_u32_e32 0, v0
	s_cbranch_execz .LBB1_46
; %bb.45:
	s_mul_u64 s[0:1], s[22:23], s[20:21]
	s_delay_alu instid0(SALU_CYCLE_1)
	s_lshl_b64 s[0:1], s[0:1], 3
	s_cmp_eq_u64 s[16:17], 0
	s_add_nc_u64 s[0:1], s[18:19], s[0:1]
	s_cselect_b32 s2, -1, 0
	s_wait_kmcnt 0x0
	v_cndmask_b32_e64 v1, v3, s25, s2
	v_cndmask_b32_e64 v0, v2, s24, s2
	v_mov_b32_e32 v2, 0
	s_lshl_b64 s[2:3], s[14:15], 3
	s_delay_alu instid0(SALU_CYCLE_1)
	s_add_nc_u64 s[0:1], s[0:1], s[2:3]
	global_store_b64 v2, v[0:1], s[0:1]
.LBB1_46:
	s_endpgm
	.section	.rodata,"a",@progbits
	.p2align	6, 0x0
	.amdhsa_kernel _ZN7rocprim17ROCPRIM_400000_NS6detail17trampoline_kernelINS0_14default_configENS1_22reduce_config_selectorI11minmax_pairIiEEEZNS1_11reduce_implILb1ES3_PS6_S9_S6_16minmax_binary_opIiEEE10hipError_tPvRmT1_T2_T3_mT4_P12ihipStream_tbEUlT_E0_NS1_11comp_targetILNS1_3genE0ELNS1_11target_archE4294967295ELNS1_3gpuE0ELNS1_3repE0EEENS1_30default_config_static_selectorELNS0_4arch9wavefront6targetE0EEEvSF_
		.amdhsa_group_segment_fixed_size 128
		.amdhsa_private_segment_fixed_size 0
		.amdhsa_kernarg_size 64
		.amdhsa_user_sgpr_count 2
		.amdhsa_user_sgpr_dispatch_ptr 0
		.amdhsa_user_sgpr_queue_ptr 0
		.amdhsa_user_sgpr_kernarg_segment_ptr 1
		.amdhsa_user_sgpr_dispatch_id 0
		.amdhsa_user_sgpr_kernarg_preload_length 0
		.amdhsa_user_sgpr_kernarg_preload_offset 0
		.amdhsa_user_sgpr_private_segment_size 0
		.amdhsa_wavefront_size32 1
		.amdhsa_uses_dynamic_stack 0
		.amdhsa_enable_private_segment 0
		.amdhsa_system_sgpr_workgroup_id_x 1
		.amdhsa_system_sgpr_workgroup_id_y 0
		.amdhsa_system_sgpr_workgroup_id_z 0
		.amdhsa_system_sgpr_workgroup_info 0
		.amdhsa_system_vgpr_workitem_id 0
		.amdhsa_next_free_vgpr 34
		.amdhsa_next_free_sgpr 30
		.amdhsa_named_barrier_count 0
		.amdhsa_reserve_vcc 1
		.amdhsa_float_round_mode_32 0
		.amdhsa_float_round_mode_16_64 0
		.amdhsa_float_denorm_mode_32 3
		.amdhsa_float_denorm_mode_16_64 3
		.amdhsa_fp16_overflow 0
		.amdhsa_memory_ordered 1
		.amdhsa_forward_progress 1
		.amdhsa_inst_pref_size 23
		.amdhsa_round_robin_scheduling 0
		.amdhsa_exception_fp_ieee_invalid_op 0
		.amdhsa_exception_fp_denorm_src 0
		.amdhsa_exception_fp_ieee_div_zero 0
		.amdhsa_exception_fp_ieee_overflow 0
		.amdhsa_exception_fp_ieee_underflow 0
		.amdhsa_exception_fp_ieee_inexact 0
		.amdhsa_exception_int_div_zero 0
	.end_amdhsa_kernel
	.section	.text._ZN7rocprim17ROCPRIM_400000_NS6detail17trampoline_kernelINS0_14default_configENS1_22reduce_config_selectorI11minmax_pairIiEEEZNS1_11reduce_implILb1ES3_PS6_S9_S6_16minmax_binary_opIiEEE10hipError_tPvRmT1_T2_T3_mT4_P12ihipStream_tbEUlT_E0_NS1_11comp_targetILNS1_3genE0ELNS1_11target_archE4294967295ELNS1_3gpuE0ELNS1_3repE0EEENS1_30default_config_static_selectorELNS0_4arch9wavefront6targetE0EEEvSF_,"axG",@progbits,_ZN7rocprim17ROCPRIM_400000_NS6detail17trampoline_kernelINS0_14default_configENS1_22reduce_config_selectorI11minmax_pairIiEEEZNS1_11reduce_implILb1ES3_PS6_S9_S6_16minmax_binary_opIiEEE10hipError_tPvRmT1_T2_T3_mT4_P12ihipStream_tbEUlT_E0_NS1_11comp_targetILNS1_3genE0ELNS1_11target_archE4294967295ELNS1_3gpuE0ELNS1_3repE0EEENS1_30default_config_static_selectorELNS0_4arch9wavefront6targetE0EEEvSF_,comdat
.Lfunc_end1:
	.size	_ZN7rocprim17ROCPRIM_400000_NS6detail17trampoline_kernelINS0_14default_configENS1_22reduce_config_selectorI11minmax_pairIiEEEZNS1_11reduce_implILb1ES3_PS6_S9_S6_16minmax_binary_opIiEEE10hipError_tPvRmT1_T2_T3_mT4_P12ihipStream_tbEUlT_E0_NS1_11comp_targetILNS1_3genE0ELNS1_11target_archE4294967295ELNS1_3gpuE0ELNS1_3repE0EEENS1_30default_config_static_selectorELNS0_4arch9wavefront6targetE0EEEvSF_, .Lfunc_end1-_ZN7rocprim17ROCPRIM_400000_NS6detail17trampoline_kernelINS0_14default_configENS1_22reduce_config_selectorI11minmax_pairIiEEEZNS1_11reduce_implILb1ES3_PS6_S9_S6_16minmax_binary_opIiEEE10hipError_tPvRmT1_T2_T3_mT4_P12ihipStream_tbEUlT_E0_NS1_11comp_targetILNS1_3genE0ELNS1_11target_archE4294967295ELNS1_3gpuE0ELNS1_3repE0EEENS1_30default_config_static_selectorELNS0_4arch9wavefront6targetE0EEEvSF_
                                        ; -- End function
	.set _ZN7rocprim17ROCPRIM_400000_NS6detail17trampoline_kernelINS0_14default_configENS1_22reduce_config_selectorI11minmax_pairIiEEEZNS1_11reduce_implILb1ES3_PS6_S9_S6_16minmax_binary_opIiEEE10hipError_tPvRmT1_T2_T3_mT4_P12ihipStream_tbEUlT_E0_NS1_11comp_targetILNS1_3genE0ELNS1_11target_archE4294967295ELNS1_3gpuE0ELNS1_3repE0EEENS1_30default_config_static_selectorELNS0_4arch9wavefront6targetE0EEEvSF_.num_vgpr, 34
	.set _ZN7rocprim17ROCPRIM_400000_NS6detail17trampoline_kernelINS0_14default_configENS1_22reduce_config_selectorI11minmax_pairIiEEEZNS1_11reduce_implILb1ES3_PS6_S9_S6_16minmax_binary_opIiEEE10hipError_tPvRmT1_T2_T3_mT4_P12ihipStream_tbEUlT_E0_NS1_11comp_targetILNS1_3genE0ELNS1_11target_archE4294967295ELNS1_3gpuE0ELNS1_3repE0EEENS1_30default_config_static_selectorELNS0_4arch9wavefront6targetE0EEEvSF_.num_agpr, 0
	.set _ZN7rocprim17ROCPRIM_400000_NS6detail17trampoline_kernelINS0_14default_configENS1_22reduce_config_selectorI11minmax_pairIiEEEZNS1_11reduce_implILb1ES3_PS6_S9_S6_16minmax_binary_opIiEEE10hipError_tPvRmT1_T2_T3_mT4_P12ihipStream_tbEUlT_E0_NS1_11comp_targetILNS1_3genE0ELNS1_11target_archE4294967295ELNS1_3gpuE0ELNS1_3repE0EEENS1_30default_config_static_selectorELNS0_4arch9wavefront6targetE0EEEvSF_.numbered_sgpr, 30
	.set _ZN7rocprim17ROCPRIM_400000_NS6detail17trampoline_kernelINS0_14default_configENS1_22reduce_config_selectorI11minmax_pairIiEEEZNS1_11reduce_implILb1ES3_PS6_S9_S6_16minmax_binary_opIiEEE10hipError_tPvRmT1_T2_T3_mT4_P12ihipStream_tbEUlT_E0_NS1_11comp_targetILNS1_3genE0ELNS1_11target_archE4294967295ELNS1_3gpuE0ELNS1_3repE0EEENS1_30default_config_static_selectorELNS0_4arch9wavefront6targetE0EEEvSF_.num_named_barrier, 0
	.set _ZN7rocprim17ROCPRIM_400000_NS6detail17trampoline_kernelINS0_14default_configENS1_22reduce_config_selectorI11minmax_pairIiEEEZNS1_11reduce_implILb1ES3_PS6_S9_S6_16minmax_binary_opIiEEE10hipError_tPvRmT1_T2_T3_mT4_P12ihipStream_tbEUlT_E0_NS1_11comp_targetILNS1_3genE0ELNS1_11target_archE4294967295ELNS1_3gpuE0ELNS1_3repE0EEENS1_30default_config_static_selectorELNS0_4arch9wavefront6targetE0EEEvSF_.private_seg_size, 0
	.set _ZN7rocprim17ROCPRIM_400000_NS6detail17trampoline_kernelINS0_14default_configENS1_22reduce_config_selectorI11minmax_pairIiEEEZNS1_11reduce_implILb1ES3_PS6_S9_S6_16minmax_binary_opIiEEE10hipError_tPvRmT1_T2_T3_mT4_P12ihipStream_tbEUlT_E0_NS1_11comp_targetILNS1_3genE0ELNS1_11target_archE4294967295ELNS1_3gpuE0ELNS1_3repE0EEENS1_30default_config_static_selectorELNS0_4arch9wavefront6targetE0EEEvSF_.uses_vcc, 1
	.set _ZN7rocprim17ROCPRIM_400000_NS6detail17trampoline_kernelINS0_14default_configENS1_22reduce_config_selectorI11minmax_pairIiEEEZNS1_11reduce_implILb1ES3_PS6_S9_S6_16minmax_binary_opIiEEE10hipError_tPvRmT1_T2_T3_mT4_P12ihipStream_tbEUlT_E0_NS1_11comp_targetILNS1_3genE0ELNS1_11target_archE4294967295ELNS1_3gpuE0ELNS1_3repE0EEENS1_30default_config_static_selectorELNS0_4arch9wavefront6targetE0EEEvSF_.uses_flat_scratch, 0
	.set _ZN7rocprim17ROCPRIM_400000_NS6detail17trampoline_kernelINS0_14default_configENS1_22reduce_config_selectorI11minmax_pairIiEEEZNS1_11reduce_implILb1ES3_PS6_S9_S6_16minmax_binary_opIiEEE10hipError_tPvRmT1_T2_T3_mT4_P12ihipStream_tbEUlT_E0_NS1_11comp_targetILNS1_3genE0ELNS1_11target_archE4294967295ELNS1_3gpuE0ELNS1_3repE0EEENS1_30default_config_static_selectorELNS0_4arch9wavefront6targetE0EEEvSF_.has_dyn_sized_stack, 0
	.set _ZN7rocprim17ROCPRIM_400000_NS6detail17trampoline_kernelINS0_14default_configENS1_22reduce_config_selectorI11minmax_pairIiEEEZNS1_11reduce_implILb1ES3_PS6_S9_S6_16minmax_binary_opIiEEE10hipError_tPvRmT1_T2_T3_mT4_P12ihipStream_tbEUlT_E0_NS1_11comp_targetILNS1_3genE0ELNS1_11target_archE4294967295ELNS1_3gpuE0ELNS1_3repE0EEENS1_30default_config_static_selectorELNS0_4arch9wavefront6targetE0EEEvSF_.has_recursion, 0
	.set _ZN7rocprim17ROCPRIM_400000_NS6detail17trampoline_kernelINS0_14default_configENS1_22reduce_config_selectorI11minmax_pairIiEEEZNS1_11reduce_implILb1ES3_PS6_S9_S6_16minmax_binary_opIiEEE10hipError_tPvRmT1_T2_T3_mT4_P12ihipStream_tbEUlT_E0_NS1_11comp_targetILNS1_3genE0ELNS1_11target_archE4294967295ELNS1_3gpuE0ELNS1_3repE0EEENS1_30default_config_static_selectorELNS0_4arch9wavefront6targetE0EEEvSF_.has_indirect_call, 0
	.section	.AMDGPU.csdata,"",@progbits
; Kernel info:
; codeLenInByte = 2900
; TotalNumSgprs: 32
; NumVgprs: 34
; ScratchSize: 0
; MemoryBound: 0
; FloatMode: 240
; IeeeMode: 1
; LDSByteSize: 128 bytes/workgroup (compile time only)
; SGPRBlocks: 0
; VGPRBlocks: 2
; NumSGPRsForWavesPerEU: 32
; NumVGPRsForWavesPerEU: 34
; NamedBarCnt: 0
; Occupancy: 16
; WaveLimiterHint : 1
; COMPUTE_PGM_RSRC2:SCRATCH_EN: 0
; COMPUTE_PGM_RSRC2:USER_SGPR: 2
; COMPUTE_PGM_RSRC2:TRAP_HANDLER: 0
; COMPUTE_PGM_RSRC2:TGID_X_EN: 1
; COMPUTE_PGM_RSRC2:TGID_Y_EN: 0
; COMPUTE_PGM_RSRC2:TGID_Z_EN: 0
; COMPUTE_PGM_RSRC2:TIDIG_COMP_CNT: 0
	.section	.text._ZN7rocprim17ROCPRIM_400000_NS6detail17trampoline_kernelINS0_14default_configENS1_22reduce_config_selectorI11minmax_pairIiEEEZNS1_11reduce_implILb1ES3_PS6_S9_S6_16minmax_binary_opIiEEE10hipError_tPvRmT1_T2_T3_mT4_P12ihipStream_tbEUlT_E0_NS1_11comp_targetILNS1_3genE5ELNS1_11target_archE942ELNS1_3gpuE9ELNS1_3repE0EEENS1_30default_config_static_selectorELNS0_4arch9wavefront6targetE0EEEvSF_,"axG",@progbits,_ZN7rocprim17ROCPRIM_400000_NS6detail17trampoline_kernelINS0_14default_configENS1_22reduce_config_selectorI11minmax_pairIiEEEZNS1_11reduce_implILb1ES3_PS6_S9_S6_16minmax_binary_opIiEEE10hipError_tPvRmT1_T2_T3_mT4_P12ihipStream_tbEUlT_E0_NS1_11comp_targetILNS1_3genE5ELNS1_11target_archE942ELNS1_3gpuE9ELNS1_3repE0EEENS1_30default_config_static_selectorELNS0_4arch9wavefront6targetE0EEEvSF_,comdat
	.protected	_ZN7rocprim17ROCPRIM_400000_NS6detail17trampoline_kernelINS0_14default_configENS1_22reduce_config_selectorI11minmax_pairIiEEEZNS1_11reduce_implILb1ES3_PS6_S9_S6_16minmax_binary_opIiEEE10hipError_tPvRmT1_T2_T3_mT4_P12ihipStream_tbEUlT_E0_NS1_11comp_targetILNS1_3genE5ELNS1_11target_archE942ELNS1_3gpuE9ELNS1_3repE0EEENS1_30default_config_static_selectorELNS0_4arch9wavefront6targetE0EEEvSF_ ; -- Begin function _ZN7rocprim17ROCPRIM_400000_NS6detail17trampoline_kernelINS0_14default_configENS1_22reduce_config_selectorI11minmax_pairIiEEEZNS1_11reduce_implILb1ES3_PS6_S9_S6_16minmax_binary_opIiEEE10hipError_tPvRmT1_T2_T3_mT4_P12ihipStream_tbEUlT_E0_NS1_11comp_targetILNS1_3genE5ELNS1_11target_archE942ELNS1_3gpuE9ELNS1_3repE0EEENS1_30default_config_static_selectorELNS0_4arch9wavefront6targetE0EEEvSF_
	.globl	_ZN7rocprim17ROCPRIM_400000_NS6detail17trampoline_kernelINS0_14default_configENS1_22reduce_config_selectorI11minmax_pairIiEEEZNS1_11reduce_implILb1ES3_PS6_S9_S6_16minmax_binary_opIiEEE10hipError_tPvRmT1_T2_T3_mT4_P12ihipStream_tbEUlT_E0_NS1_11comp_targetILNS1_3genE5ELNS1_11target_archE942ELNS1_3gpuE9ELNS1_3repE0EEENS1_30default_config_static_selectorELNS0_4arch9wavefront6targetE0EEEvSF_
	.p2align	8
	.type	_ZN7rocprim17ROCPRIM_400000_NS6detail17trampoline_kernelINS0_14default_configENS1_22reduce_config_selectorI11minmax_pairIiEEEZNS1_11reduce_implILb1ES3_PS6_S9_S6_16minmax_binary_opIiEEE10hipError_tPvRmT1_T2_T3_mT4_P12ihipStream_tbEUlT_E0_NS1_11comp_targetILNS1_3genE5ELNS1_11target_archE942ELNS1_3gpuE9ELNS1_3repE0EEENS1_30default_config_static_selectorELNS0_4arch9wavefront6targetE0EEEvSF_,@function
_ZN7rocprim17ROCPRIM_400000_NS6detail17trampoline_kernelINS0_14default_configENS1_22reduce_config_selectorI11minmax_pairIiEEEZNS1_11reduce_implILb1ES3_PS6_S9_S6_16minmax_binary_opIiEEE10hipError_tPvRmT1_T2_T3_mT4_P12ihipStream_tbEUlT_E0_NS1_11comp_targetILNS1_3genE5ELNS1_11target_archE942ELNS1_3gpuE9ELNS1_3repE0EEENS1_30default_config_static_selectorELNS0_4arch9wavefront6targetE0EEEvSF_: ; @_ZN7rocprim17ROCPRIM_400000_NS6detail17trampoline_kernelINS0_14default_configENS1_22reduce_config_selectorI11minmax_pairIiEEEZNS1_11reduce_implILb1ES3_PS6_S9_S6_16minmax_binary_opIiEEE10hipError_tPvRmT1_T2_T3_mT4_P12ihipStream_tbEUlT_E0_NS1_11comp_targetILNS1_3genE5ELNS1_11target_archE942ELNS1_3gpuE9ELNS1_3repE0EEENS1_30default_config_static_selectorELNS0_4arch9wavefront6targetE0EEEvSF_
; %bb.0:
	.section	.rodata,"a",@progbits
	.p2align	6, 0x0
	.amdhsa_kernel _ZN7rocprim17ROCPRIM_400000_NS6detail17trampoline_kernelINS0_14default_configENS1_22reduce_config_selectorI11minmax_pairIiEEEZNS1_11reduce_implILb1ES3_PS6_S9_S6_16minmax_binary_opIiEEE10hipError_tPvRmT1_T2_T3_mT4_P12ihipStream_tbEUlT_E0_NS1_11comp_targetILNS1_3genE5ELNS1_11target_archE942ELNS1_3gpuE9ELNS1_3repE0EEENS1_30default_config_static_selectorELNS0_4arch9wavefront6targetE0EEEvSF_
		.amdhsa_group_segment_fixed_size 0
		.amdhsa_private_segment_fixed_size 0
		.amdhsa_kernarg_size 64
		.amdhsa_user_sgpr_count 2
		.amdhsa_user_sgpr_dispatch_ptr 0
		.amdhsa_user_sgpr_queue_ptr 0
		.amdhsa_user_sgpr_kernarg_segment_ptr 1
		.amdhsa_user_sgpr_dispatch_id 0
		.amdhsa_user_sgpr_kernarg_preload_length 0
		.amdhsa_user_sgpr_kernarg_preload_offset 0
		.amdhsa_user_sgpr_private_segment_size 0
		.amdhsa_wavefront_size32 1
		.amdhsa_uses_dynamic_stack 0
		.amdhsa_enable_private_segment 0
		.amdhsa_system_sgpr_workgroup_id_x 1
		.amdhsa_system_sgpr_workgroup_id_y 0
		.amdhsa_system_sgpr_workgroup_id_z 0
		.amdhsa_system_sgpr_workgroup_info 0
		.amdhsa_system_vgpr_workitem_id 0
		.amdhsa_next_free_vgpr 1
		.amdhsa_next_free_sgpr 1
		.amdhsa_named_barrier_count 0
		.amdhsa_reserve_vcc 0
		.amdhsa_float_round_mode_32 0
		.amdhsa_float_round_mode_16_64 0
		.amdhsa_float_denorm_mode_32 3
		.amdhsa_float_denorm_mode_16_64 3
		.amdhsa_fp16_overflow 0
		.amdhsa_memory_ordered 1
		.amdhsa_forward_progress 1
		.amdhsa_inst_pref_size 0
		.amdhsa_round_robin_scheduling 0
		.amdhsa_exception_fp_ieee_invalid_op 0
		.amdhsa_exception_fp_denorm_src 0
		.amdhsa_exception_fp_ieee_div_zero 0
		.amdhsa_exception_fp_ieee_overflow 0
		.amdhsa_exception_fp_ieee_underflow 0
		.amdhsa_exception_fp_ieee_inexact 0
		.amdhsa_exception_int_div_zero 0
	.end_amdhsa_kernel
	.section	.text._ZN7rocprim17ROCPRIM_400000_NS6detail17trampoline_kernelINS0_14default_configENS1_22reduce_config_selectorI11minmax_pairIiEEEZNS1_11reduce_implILb1ES3_PS6_S9_S6_16minmax_binary_opIiEEE10hipError_tPvRmT1_T2_T3_mT4_P12ihipStream_tbEUlT_E0_NS1_11comp_targetILNS1_3genE5ELNS1_11target_archE942ELNS1_3gpuE9ELNS1_3repE0EEENS1_30default_config_static_selectorELNS0_4arch9wavefront6targetE0EEEvSF_,"axG",@progbits,_ZN7rocprim17ROCPRIM_400000_NS6detail17trampoline_kernelINS0_14default_configENS1_22reduce_config_selectorI11minmax_pairIiEEEZNS1_11reduce_implILb1ES3_PS6_S9_S6_16minmax_binary_opIiEEE10hipError_tPvRmT1_T2_T3_mT4_P12ihipStream_tbEUlT_E0_NS1_11comp_targetILNS1_3genE5ELNS1_11target_archE942ELNS1_3gpuE9ELNS1_3repE0EEENS1_30default_config_static_selectorELNS0_4arch9wavefront6targetE0EEEvSF_,comdat
.Lfunc_end2:
	.size	_ZN7rocprim17ROCPRIM_400000_NS6detail17trampoline_kernelINS0_14default_configENS1_22reduce_config_selectorI11minmax_pairIiEEEZNS1_11reduce_implILb1ES3_PS6_S9_S6_16minmax_binary_opIiEEE10hipError_tPvRmT1_T2_T3_mT4_P12ihipStream_tbEUlT_E0_NS1_11comp_targetILNS1_3genE5ELNS1_11target_archE942ELNS1_3gpuE9ELNS1_3repE0EEENS1_30default_config_static_selectorELNS0_4arch9wavefront6targetE0EEEvSF_, .Lfunc_end2-_ZN7rocprim17ROCPRIM_400000_NS6detail17trampoline_kernelINS0_14default_configENS1_22reduce_config_selectorI11minmax_pairIiEEEZNS1_11reduce_implILb1ES3_PS6_S9_S6_16minmax_binary_opIiEEE10hipError_tPvRmT1_T2_T3_mT4_P12ihipStream_tbEUlT_E0_NS1_11comp_targetILNS1_3genE5ELNS1_11target_archE942ELNS1_3gpuE9ELNS1_3repE0EEENS1_30default_config_static_selectorELNS0_4arch9wavefront6targetE0EEEvSF_
                                        ; -- End function
	.set _ZN7rocprim17ROCPRIM_400000_NS6detail17trampoline_kernelINS0_14default_configENS1_22reduce_config_selectorI11minmax_pairIiEEEZNS1_11reduce_implILb1ES3_PS6_S9_S6_16minmax_binary_opIiEEE10hipError_tPvRmT1_T2_T3_mT4_P12ihipStream_tbEUlT_E0_NS1_11comp_targetILNS1_3genE5ELNS1_11target_archE942ELNS1_3gpuE9ELNS1_3repE0EEENS1_30default_config_static_selectorELNS0_4arch9wavefront6targetE0EEEvSF_.num_vgpr, 0
	.set _ZN7rocprim17ROCPRIM_400000_NS6detail17trampoline_kernelINS0_14default_configENS1_22reduce_config_selectorI11minmax_pairIiEEEZNS1_11reduce_implILb1ES3_PS6_S9_S6_16minmax_binary_opIiEEE10hipError_tPvRmT1_T2_T3_mT4_P12ihipStream_tbEUlT_E0_NS1_11comp_targetILNS1_3genE5ELNS1_11target_archE942ELNS1_3gpuE9ELNS1_3repE0EEENS1_30default_config_static_selectorELNS0_4arch9wavefront6targetE0EEEvSF_.num_agpr, 0
	.set _ZN7rocprim17ROCPRIM_400000_NS6detail17trampoline_kernelINS0_14default_configENS1_22reduce_config_selectorI11minmax_pairIiEEEZNS1_11reduce_implILb1ES3_PS6_S9_S6_16minmax_binary_opIiEEE10hipError_tPvRmT1_T2_T3_mT4_P12ihipStream_tbEUlT_E0_NS1_11comp_targetILNS1_3genE5ELNS1_11target_archE942ELNS1_3gpuE9ELNS1_3repE0EEENS1_30default_config_static_selectorELNS0_4arch9wavefront6targetE0EEEvSF_.numbered_sgpr, 0
	.set _ZN7rocprim17ROCPRIM_400000_NS6detail17trampoline_kernelINS0_14default_configENS1_22reduce_config_selectorI11minmax_pairIiEEEZNS1_11reduce_implILb1ES3_PS6_S9_S6_16minmax_binary_opIiEEE10hipError_tPvRmT1_T2_T3_mT4_P12ihipStream_tbEUlT_E0_NS1_11comp_targetILNS1_3genE5ELNS1_11target_archE942ELNS1_3gpuE9ELNS1_3repE0EEENS1_30default_config_static_selectorELNS0_4arch9wavefront6targetE0EEEvSF_.num_named_barrier, 0
	.set _ZN7rocprim17ROCPRIM_400000_NS6detail17trampoline_kernelINS0_14default_configENS1_22reduce_config_selectorI11minmax_pairIiEEEZNS1_11reduce_implILb1ES3_PS6_S9_S6_16minmax_binary_opIiEEE10hipError_tPvRmT1_T2_T3_mT4_P12ihipStream_tbEUlT_E0_NS1_11comp_targetILNS1_3genE5ELNS1_11target_archE942ELNS1_3gpuE9ELNS1_3repE0EEENS1_30default_config_static_selectorELNS0_4arch9wavefront6targetE0EEEvSF_.private_seg_size, 0
	.set _ZN7rocprim17ROCPRIM_400000_NS6detail17trampoline_kernelINS0_14default_configENS1_22reduce_config_selectorI11minmax_pairIiEEEZNS1_11reduce_implILb1ES3_PS6_S9_S6_16minmax_binary_opIiEEE10hipError_tPvRmT1_T2_T3_mT4_P12ihipStream_tbEUlT_E0_NS1_11comp_targetILNS1_3genE5ELNS1_11target_archE942ELNS1_3gpuE9ELNS1_3repE0EEENS1_30default_config_static_selectorELNS0_4arch9wavefront6targetE0EEEvSF_.uses_vcc, 0
	.set _ZN7rocprim17ROCPRIM_400000_NS6detail17trampoline_kernelINS0_14default_configENS1_22reduce_config_selectorI11minmax_pairIiEEEZNS1_11reduce_implILb1ES3_PS6_S9_S6_16minmax_binary_opIiEEE10hipError_tPvRmT1_T2_T3_mT4_P12ihipStream_tbEUlT_E0_NS1_11comp_targetILNS1_3genE5ELNS1_11target_archE942ELNS1_3gpuE9ELNS1_3repE0EEENS1_30default_config_static_selectorELNS0_4arch9wavefront6targetE0EEEvSF_.uses_flat_scratch, 0
	.set _ZN7rocprim17ROCPRIM_400000_NS6detail17trampoline_kernelINS0_14default_configENS1_22reduce_config_selectorI11minmax_pairIiEEEZNS1_11reduce_implILb1ES3_PS6_S9_S6_16minmax_binary_opIiEEE10hipError_tPvRmT1_T2_T3_mT4_P12ihipStream_tbEUlT_E0_NS1_11comp_targetILNS1_3genE5ELNS1_11target_archE942ELNS1_3gpuE9ELNS1_3repE0EEENS1_30default_config_static_selectorELNS0_4arch9wavefront6targetE0EEEvSF_.has_dyn_sized_stack, 0
	.set _ZN7rocprim17ROCPRIM_400000_NS6detail17trampoline_kernelINS0_14default_configENS1_22reduce_config_selectorI11minmax_pairIiEEEZNS1_11reduce_implILb1ES3_PS6_S9_S6_16minmax_binary_opIiEEE10hipError_tPvRmT1_T2_T3_mT4_P12ihipStream_tbEUlT_E0_NS1_11comp_targetILNS1_3genE5ELNS1_11target_archE942ELNS1_3gpuE9ELNS1_3repE0EEENS1_30default_config_static_selectorELNS0_4arch9wavefront6targetE0EEEvSF_.has_recursion, 0
	.set _ZN7rocprim17ROCPRIM_400000_NS6detail17trampoline_kernelINS0_14default_configENS1_22reduce_config_selectorI11minmax_pairIiEEEZNS1_11reduce_implILb1ES3_PS6_S9_S6_16minmax_binary_opIiEEE10hipError_tPvRmT1_T2_T3_mT4_P12ihipStream_tbEUlT_E0_NS1_11comp_targetILNS1_3genE5ELNS1_11target_archE942ELNS1_3gpuE9ELNS1_3repE0EEENS1_30default_config_static_selectorELNS0_4arch9wavefront6targetE0EEEvSF_.has_indirect_call, 0
	.section	.AMDGPU.csdata,"",@progbits
; Kernel info:
; codeLenInByte = 0
; TotalNumSgprs: 0
; NumVgprs: 0
; ScratchSize: 0
; MemoryBound: 0
; FloatMode: 240
; IeeeMode: 1
; LDSByteSize: 0 bytes/workgroup (compile time only)
; SGPRBlocks: 0
; VGPRBlocks: 0
; NumSGPRsForWavesPerEU: 1
; NumVGPRsForWavesPerEU: 1
; NamedBarCnt: 0
; Occupancy: 16
; WaveLimiterHint : 0
; COMPUTE_PGM_RSRC2:SCRATCH_EN: 0
; COMPUTE_PGM_RSRC2:USER_SGPR: 2
; COMPUTE_PGM_RSRC2:TRAP_HANDLER: 0
; COMPUTE_PGM_RSRC2:TGID_X_EN: 1
; COMPUTE_PGM_RSRC2:TGID_Y_EN: 0
; COMPUTE_PGM_RSRC2:TGID_Z_EN: 0
; COMPUTE_PGM_RSRC2:TIDIG_COMP_CNT: 0
	.section	.text._ZN7rocprim17ROCPRIM_400000_NS6detail17trampoline_kernelINS0_14default_configENS1_22reduce_config_selectorI11minmax_pairIiEEEZNS1_11reduce_implILb1ES3_PS6_S9_S6_16minmax_binary_opIiEEE10hipError_tPvRmT1_T2_T3_mT4_P12ihipStream_tbEUlT_E0_NS1_11comp_targetILNS1_3genE4ELNS1_11target_archE910ELNS1_3gpuE8ELNS1_3repE0EEENS1_30default_config_static_selectorELNS0_4arch9wavefront6targetE0EEEvSF_,"axG",@progbits,_ZN7rocprim17ROCPRIM_400000_NS6detail17trampoline_kernelINS0_14default_configENS1_22reduce_config_selectorI11minmax_pairIiEEEZNS1_11reduce_implILb1ES3_PS6_S9_S6_16minmax_binary_opIiEEE10hipError_tPvRmT1_T2_T3_mT4_P12ihipStream_tbEUlT_E0_NS1_11comp_targetILNS1_3genE4ELNS1_11target_archE910ELNS1_3gpuE8ELNS1_3repE0EEENS1_30default_config_static_selectorELNS0_4arch9wavefront6targetE0EEEvSF_,comdat
	.protected	_ZN7rocprim17ROCPRIM_400000_NS6detail17trampoline_kernelINS0_14default_configENS1_22reduce_config_selectorI11minmax_pairIiEEEZNS1_11reduce_implILb1ES3_PS6_S9_S6_16minmax_binary_opIiEEE10hipError_tPvRmT1_T2_T3_mT4_P12ihipStream_tbEUlT_E0_NS1_11comp_targetILNS1_3genE4ELNS1_11target_archE910ELNS1_3gpuE8ELNS1_3repE0EEENS1_30default_config_static_selectorELNS0_4arch9wavefront6targetE0EEEvSF_ ; -- Begin function _ZN7rocprim17ROCPRIM_400000_NS6detail17trampoline_kernelINS0_14default_configENS1_22reduce_config_selectorI11minmax_pairIiEEEZNS1_11reduce_implILb1ES3_PS6_S9_S6_16minmax_binary_opIiEEE10hipError_tPvRmT1_T2_T3_mT4_P12ihipStream_tbEUlT_E0_NS1_11comp_targetILNS1_3genE4ELNS1_11target_archE910ELNS1_3gpuE8ELNS1_3repE0EEENS1_30default_config_static_selectorELNS0_4arch9wavefront6targetE0EEEvSF_
	.globl	_ZN7rocprim17ROCPRIM_400000_NS6detail17trampoline_kernelINS0_14default_configENS1_22reduce_config_selectorI11minmax_pairIiEEEZNS1_11reduce_implILb1ES3_PS6_S9_S6_16minmax_binary_opIiEEE10hipError_tPvRmT1_T2_T3_mT4_P12ihipStream_tbEUlT_E0_NS1_11comp_targetILNS1_3genE4ELNS1_11target_archE910ELNS1_3gpuE8ELNS1_3repE0EEENS1_30default_config_static_selectorELNS0_4arch9wavefront6targetE0EEEvSF_
	.p2align	8
	.type	_ZN7rocprim17ROCPRIM_400000_NS6detail17trampoline_kernelINS0_14default_configENS1_22reduce_config_selectorI11minmax_pairIiEEEZNS1_11reduce_implILb1ES3_PS6_S9_S6_16minmax_binary_opIiEEE10hipError_tPvRmT1_T2_T3_mT4_P12ihipStream_tbEUlT_E0_NS1_11comp_targetILNS1_3genE4ELNS1_11target_archE910ELNS1_3gpuE8ELNS1_3repE0EEENS1_30default_config_static_selectorELNS0_4arch9wavefront6targetE0EEEvSF_,@function
_ZN7rocprim17ROCPRIM_400000_NS6detail17trampoline_kernelINS0_14default_configENS1_22reduce_config_selectorI11minmax_pairIiEEEZNS1_11reduce_implILb1ES3_PS6_S9_S6_16minmax_binary_opIiEEE10hipError_tPvRmT1_T2_T3_mT4_P12ihipStream_tbEUlT_E0_NS1_11comp_targetILNS1_3genE4ELNS1_11target_archE910ELNS1_3gpuE8ELNS1_3repE0EEENS1_30default_config_static_selectorELNS0_4arch9wavefront6targetE0EEEvSF_: ; @_ZN7rocprim17ROCPRIM_400000_NS6detail17trampoline_kernelINS0_14default_configENS1_22reduce_config_selectorI11minmax_pairIiEEEZNS1_11reduce_implILb1ES3_PS6_S9_S6_16minmax_binary_opIiEEE10hipError_tPvRmT1_T2_T3_mT4_P12ihipStream_tbEUlT_E0_NS1_11comp_targetILNS1_3genE4ELNS1_11target_archE910ELNS1_3gpuE8ELNS1_3repE0EEENS1_30default_config_static_selectorELNS0_4arch9wavefront6targetE0EEEvSF_
; %bb.0:
	.section	.rodata,"a",@progbits
	.p2align	6, 0x0
	.amdhsa_kernel _ZN7rocprim17ROCPRIM_400000_NS6detail17trampoline_kernelINS0_14default_configENS1_22reduce_config_selectorI11minmax_pairIiEEEZNS1_11reduce_implILb1ES3_PS6_S9_S6_16minmax_binary_opIiEEE10hipError_tPvRmT1_T2_T3_mT4_P12ihipStream_tbEUlT_E0_NS1_11comp_targetILNS1_3genE4ELNS1_11target_archE910ELNS1_3gpuE8ELNS1_3repE0EEENS1_30default_config_static_selectorELNS0_4arch9wavefront6targetE0EEEvSF_
		.amdhsa_group_segment_fixed_size 0
		.amdhsa_private_segment_fixed_size 0
		.amdhsa_kernarg_size 64
		.amdhsa_user_sgpr_count 2
		.amdhsa_user_sgpr_dispatch_ptr 0
		.amdhsa_user_sgpr_queue_ptr 0
		.amdhsa_user_sgpr_kernarg_segment_ptr 1
		.amdhsa_user_sgpr_dispatch_id 0
		.amdhsa_user_sgpr_kernarg_preload_length 0
		.amdhsa_user_sgpr_kernarg_preload_offset 0
		.amdhsa_user_sgpr_private_segment_size 0
		.amdhsa_wavefront_size32 1
		.amdhsa_uses_dynamic_stack 0
		.amdhsa_enable_private_segment 0
		.amdhsa_system_sgpr_workgroup_id_x 1
		.amdhsa_system_sgpr_workgroup_id_y 0
		.amdhsa_system_sgpr_workgroup_id_z 0
		.amdhsa_system_sgpr_workgroup_info 0
		.amdhsa_system_vgpr_workitem_id 0
		.amdhsa_next_free_vgpr 1
		.amdhsa_next_free_sgpr 1
		.amdhsa_named_barrier_count 0
		.amdhsa_reserve_vcc 0
		.amdhsa_float_round_mode_32 0
		.amdhsa_float_round_mode_16_64 0
		.amdhsa_float_denorm_mode_32 3
		.amdhsa_float_denorm_mode_16_64 3
		.amdhsa_fp16_overflow 0
		.amdhsa_memory_ordered 1
		.amdhsa_forward_progress 1
		.amdhsa_inst_pref_size 0
		.amdhsa_round_robin_scheduling 0
		.amdhsa_exception_fp_ieee_invalid_op 0
		.amdhsa_exception_fp_denorm_src 0
		.amdhsa_exception_fp_ieee_div_zero 0
		.amdhsa_exception_fp_ieee_overflow 0
		.amdhsa_exception_fp_ieee_underflow 0
		.amdhsa_exception_fp_ieee_inexact 0
		.amdhsa_exception_int_div_zero 0
	.end_amdhsa_kernel
	.section	.text._ZN7rocprim17ROCPRIM_400000_NS6detail17trampoline_kernelINS0_14default_configENS1_22reduce_config_selectorI11minmax_pairIiEEEZNS1_11reduce_implILb1ES3_PS6_S9_S6_16minmax_binary_opIiEEE10hipError_tPvRmT1_T2_T3_mT4_P12ihipStream_tbEUlT_E0_NS1_11comp_targetILNS1_3genE4ELNS1_11target_archE910ELNS1_3gpuE8ELNS1_3repE0EEENS1_30default_config_static_selectorELNS0_4arch9wavefront6targetE0EEEvSF_,"axG",@progbits,_ZN7rocprim17ROCPRIM_400000_NS6detail17trampoline_kernelINS0_14default_configENS1_22reduce_config_selectorI11minmax_pairIiEEEZNS1_11reduce_implILb1ES3_PS6_S9_S6_16minmax_binary_opIiEEE10hipError_tPvRmT1_T2_T3_mT4_P12ihipStream_tbEUlT_E0_NS1_11comp_targetILNS1_3genE4ELNS1_11target_archE910ELNS1_3gpuE8ELNS1_3repE0EEENS1_30default_config_static_selectorELNS0_4arch9wavefront6targetE0EEEvSF_,comdat
.Lfunc_end3:
	.size	_ZN7rocprim17ROCPRIM_400000_NS6detail17trampoline_kernelINS0_14default_configENS1_22reduce_config_selectorI11minmax_pairIiEEEZNS1_11reduce_implILb1ES3_PS6_S9_S6_16minmax_binary_opIiEEE10hipError_tPvRmT1_T2_T3_mT4_P12ihipStream_tbEUlT_E0_NS1_11comp_targetILNS1_3genE4ELNS1_11target_archE910ELNS1_3gpuE8ELNS1_3repE0EEENS1_30default_config_static_selectorELNS0_4arch9wavefront6targetE0EEEvSF_, .Lfunc_end3-_ZN7rocprim17ROCPRIM_400000_NS6detail17trampoline_kernelINS0_14default_configENS1_22reduce_config_selectorI11minmax_pairIiEEEZNS1_11reduce_implILb1ES3_PS6_S9_S6_16minmax_binary_opIiEEE10hipError_tPvRmT1_T2_T3_mT4_P12ihipStream_tbEUlT_E0_NS1_11comp_targetILNS1_3genE4ELNS1_11target_archE910ELNS1_3gpuE8ELNS1_3repE0EEENS1_30default_config_static_selectorELNS0_4arch9wavefront6targetE0EEEvSF_
                                        ; -- End function
	.set _ZN7rocprim17ROCPRIM_400000_NS6detail17trampoline_kernelINS0_14default_configENS1_22reduce_config_selectorI11minmax_pairIiEEEZNS1_11reduce_implILb1ES3_PS6_S9_S6_16minmax_binary_opIiEEE10hipError_tPvRmT1_T2_T3_mT4_P12ihipStream_tbEUlT_E0_NS1_11comp_targetILNS1_3genE4ELNS1_11target_archE910ELNS1_3gpuE8ELNS1_3repE0EEENS1_30default_config_static_selectorELNS0_4arch9wavefront6targetE0EEEvSF_.num_vgpr, 0
	.set _ZN7rocprim17ROCPRIM_400000_NS6detail17trampoline_kernelINS0_14default_configENS1_22reduce_config_selectorI11minmax_pairIiEEEZNS1_11reduce_implILb1ES3_PS6_S9_S6_16minmax_binary_opIiEEE10hipError_tPvRmT1_T2_T3_mT4_P12ihipStream_tbEUlT_E0_NS1_11comp_targetILNS1_3genE4ELNS1_11target_archE910ELNS1_3gpuE8ELNS1_3repE0EEENS1_30default_config_static_selectorELNS0_4arch9wavefront6targetE0EEEvSF_.num_agpr, 0
	.set _ZN7rocprim17ROCPRIM_400000_NS6detail17trampoline_kernelINS0_14default_configENS1_22reduce_config_selectorI11minmax_pairIiEEEZNS1_11reduce_implILb1ES3_PS6_S9_S6_16minmax_binary_opIiEEE10hipError_tPvRmT1_T2_T3_mT4_P12ihipStream_tbEUlT_E0_NS1_11comp_targetILNS1_3genE4ELNS1_11target_archE910ELNS1_3gpuE8ELNS1_3repE0EEENS1_30default_config_static_selectorELNS0_4arch9wavefront6targetE0EEEvSF_.numbered_sgpr, 0
	.set _ZN7rocprim17ROCPRIM_400000_NS6detail17trampoline_kernelINS0_14default_configENS1_22reduce_config_selectorI11minmax_pairIiEEEZNS1_11reduce_implILb1ES3_PS6_S9_S6_16minmax_binary_opIiEEE10hipError_tPvRmT1_T2_T3_mT4_P12ihipStream_tbEUlT_E0_NS1_11comp_targetILNS1_3genE4ELNS1_11target_archE910ELNS1_3gpuE8ELNS1_3repE0EEENS1_30default_config_static_selectorELNS0_4arch9wavefront6targetE0EEEvSF_.num_named_barrier, 0
	.set _ZN7rocprim17ROCPRIM_400000_NS6detail17trampoline_kernelINS0_14default_configENS1_22reduce_config_selectorI11minmax_pairIiEEEZNS1_11reduce_implILb1ES3_PS6_S9_S6_16minmax_binary_opIiEEE10hipError_tPvRmT1_T2_T3_mT4_P12ihipStream_tbEUlT_E0_NS1_11comp_targetILNS1_3genE4ELNS1_11target_archE910ELNS1_3gpuE8ELNS1_3repE0EEENS1_30default_config_static_selectorELNS0_4arch9wavefront6targetE0EEEvSF_.private_seg_size, 0
	.set _ZN7rocprim17ROCPRIM_400000_NS6detail17trampoline_kernelINS0_14default_configENS1_22reduce_config_selectorI11minmax_pairIiEEEZNS1_11reduce_implILb1ES3_PS6_S9_S6_16minmax_binary_opIiEEE10hipError_tPvRmT1_T2_T3_mT4_P12ihipStream_tbEUlT_E0_NS1_11comp_targetILNS1_3genE4ELNS1_11target_archE910ELNS1_3gpuE8ELNS1_3repE0EEENS1_30default_config_static_selectorELNS0_4arch9wavefront6targetE0EEEvSF_.uses_vcc, 0
	.set _ZN7rocprim17ROCPRIM_400000_NS6detail17trampoline_kernelINS0_14default_configENS1_22reduce_config_selectorI11minmax_pairIiEEEZNS1_11reduce_implILb1ES3_PS6_S9_S6_16minmax_binary_opIiEEE10hipError_tPvRmT1_T2_T3_mT4_P12ihipStream_tbEUlT_E0_NS1_11comp_targetILNS1_3genE4ELNS1_11target_archE910ELNS1_3gpuE8ELNS1_3repE0EEENS1_30default_config_static_selectorELNS0_4arch9wavefront6targetE0EEEvSF_.uses_flat_scratch, 0
	.set _ZN7rocprim17ROCPRIM_400000_NS6detail17trampoline_kernelINS0_14default_configENS1_22reduce_config_selectorI11minmax_pairIiEEEZNS1_11reduce_implILb1ES3_PS6_S9_S6_16minmax_binary_opIiEEE10hipError_tPvRmT1_T2_T3_mT4_P12ihipStream_tbEUlT_E0_NS1_11comp_targetILNS1_3genE4ELNS1_11target_archE910ELNS1_3gpuE8ELNS1_3repE0EEENS1_30default_config_static_selectorELNS0_4arch9wavefront6targetE0EEEvSF_.has_dyn_sized_stack, 0
	.set _ZN7rocprim17ROCPRIM_400000_NS6detail17trampoline_kernelINS0_14default_configENS1_22reduce_config_selectorI11minmax_pairIiEEEZNS1_11reduce_implILb1ES3_PS6_S9_S6_16minmax_binary_opIiEEE10hipError_tPvRmT1_T2_T3_mT4_P12ihipStream_tbEUlT_E0_NS1_11comp_targetILNS1_3genE4ELNS1_11target_archE910ELNS1_3gpuE8ELNS1_3repE0EEENS1_30default_config_static_selectorELNS0_4arch9wavefront6targetE0EEEvSF_.has_recursion, 0
	.set _ZN7rocprim17ROCPRIM_400000_NS6detail17trampoline_kernelINS0_14default_configENS1_22reduce_config_selectorI11minmax_pairIiEEEZNS1_11reduce_implILb1ES3_PS6_S9_S6_16minmax_binary_opIiEEE10hipError_tPvRmT1_T2_T3_mT4_P12ihipStream_tbEUlT_E0_NS1_11comp_targetILNS1_3genE4ELNS1_11target_archE910ELNS1_3gpuE8ELNS1_3repE0EEENS1_30default_config_static_selectorELNS0_4arch9wavefront6targetE0EEEvSF_.has_indirect_call, 0
	.section	.AMDGPU.csdata,"",@progbits
; Kernel info:
; codeLenInByte = 0
; TotalNumSgprs: 0
; NumVgprs: 0
; ScratchSize: 0
; MemoryBound: 0
; FloatMode: 240
; IeeeMode: 1
; LDSByteSize: 0 bytes/workgroup (compile time only)
; SGPRBlocks: 0
; VGPRBlocks: 0
; NumSGPRsForWavesPerEU: 1
; NumVGPRsForWavesPerEU: 1
; NamedBarCnt: 0
; Occupancy: 16
; WaveLimiterHint : 0
; COMPUTE_PGM_RSRC2:SCRATCH_EN: 0
; COMPUTE_PGM_RSRC2:USER_SGPR: 2
; COMPUTE_PGM_RSRC2:TRAP_HANDLER: 0
; COMPUTE_PGM_RSRC2:TGID_X_EN: 1
; COMPUTE_PGM_RSRC2:TGID_Y_EN: 0
; COMPUTE_PGM_RSRC2:TGID_Z_EN: 0
; COMPUTE_PGM_RSRC2:TIDIG_COMP_CNT: 0
	.section	.text._ZN7rocprim17ROCPRIM_400000_NS6detail17trampoline_kernelINS0_14default_configENS1_22reduce_config_selectorI11minmax_pairIiEEEZNS1_11reduce_implILb1ES3_PS6_S9_S6_16minmax_binary_opIiEEE10hipError_tPvRmT1_T2_T3_mT4_P12ihipStream_tbEUlT_E0_NS1_11comp_targetILNS1_3genE3ELNS1_11target_archE908ELNS1_3gpuE7ELNS1_3repE0EEENS1_30default_config_static_selectorELNS0_4arch9wavefront6targetE0EEEvSF_,"axG",@progbits,_ZN7rocprim17ROCPRIM_400000_NS6detail17trampoline_kernelINS0_14default_configENS1_22reduce_config_selectorI11minmax_pairIiEEEZNS1_11reduce_implILb1ES3_PS6_S9_S6_16minmax_binary_opIiEEE10hipError_tPvRmT1_T2_T3_mT4_P12ihipStream_tbEUlT_E0_NS1_11comp_targetILNS1_3genE3ELNS1_11target_archE908ELNS1_3gpuE7ELNS1_3repE0EEENS1_30default_config_static_selectorELNS0_4arch9wavefront6targetE0EEEvSF_,comdat
	.protected	_ZN7rocprim17ROCPRIM_400000_NS6detail17trampoline_kernelINS0_14default_configENS1_22reduce_config_selectorI11minmax_pairIiEEEZNS1_11reduce_implILb1ES3_PS6_S9_S6_16minmax_binary_opIiEEE10hipError_tPvRmT1_T2_T3_mT4_P12ihipStream_tbEUlT_E0_NS1_11comp_targetILNS1_3genE3ELNS1_11target_archE908ELNS1_3gpuE7ELNS1_3repE0EEENS1_30default_config_static_selectorELNS0_4arch9wavefront6targetE0EEEvSF_ ; -- Begin function _ZN7rocprim17ROCPRIM_400000_NS6detail17trampoline_kernelINS0_14default_configENS1_22reduce_config_selectorI11minmax_pairIiEEEZNS1_11reduce_implILb1ES3_PS6_S9_S6_16minmax_binary_opIiEEE10hipError_tPvRmT1_T2_T3_mT4_P12ihipStream_tbEUlT_E0_NS1_11comp_targetILNS1_3genE3ELNS1_11target_archE908ELNS1_3gpuE7ELNS1_3repE0EEENS1_30default_config_static_selectorELNS0_4arch9wavefront6targetE0EEEvSF_
	.globl	_ZN7rocprim17ROCPRIM_400000_NS6detail17trampoline_kernelINS0_14default_configENS1_22reduce_config_selectorI11minmax_pairIiEEEZNS1_11reduce_implILb1ES3_PS6_S9_S6_16minmax_binary_opIiEEE10hipError_tPvRmT1_T2_T3_mT4_P12ihipStream_tbEUlT_E0_NS1_11comp_targetILNS1_3genE3ELNS1_11target_archE908ELNS1_3gpuE7ELNS1_3repE0EEENS1_30default_config_static_selectorELNS0_4arch9wavefront6targetE0EEEvSF_
	.p2align	8
	.type	_ZN7rocprim17ROCPRIM_400000_NS6detail17trampoline_kernelINS0_14default_configENS1_22reduce_config_selectorI11minmax_pairIiEEEZNS1_11reduce_implILb1ES3_PS6_S9_S6_16minmax_binary_opIiEEE10hipError_tPvRmT1_T2_T3_mT4_P12ihipStream_tbEUlT_E0_NS1_11comp_targetILNS1_3genE3ELNS1_11target_archE908ELNS1_3gpuE7ELNS1_3repE0EEENS1_30default_config_static_selectorELNS0_4arch9wavefront6targetE0EEEvSF_,@function
_ZN7rocprim17ROCPRIM_400000_NS6detail17trampoline_kernelINS0_14default_configENS1_22reduce_config_selectorI11minmax_pairIiEEEZNS1_11reduce_implILb1ES3_PS6_S9_S6_16minmax_binary_opIiEEE10hipError_tPvRmT1_T2_T3_mT4_P12ihipStream_tbEUlT_E0_NS1_11comp_targetILNS1_3genE3ELNS1_11target_archE908ELNS1_3gpuE7ELNS1_3repE0EEENS1_30default_config_static_selectorELNS0_4arch9wavefront6targetE0EEEvSF_: ; @_ZN7rocprim17ROCPRIM_400000_NS6detail17trampoline_kernelINS0_14default_configENS1_22reduce_config_selectorI11minmax_pairIiEEEZNS1_11reduce_implILb1ES3_PS6_S9_S6_16minmax_binary_opIiEEE10hipError_tPvRmT1_T2_T3_mT4_P12ihipStream_tbEUlT_E0_NS1_11comp_targetILNS1_3genE3ELNS1_11target_archE908ELNS1_3gpuE7ELNS1_3repE0EEENS1_30default_config_static_selectorELNS0_4arch9wavefront6targetE0EEEvSF_
; %bb.0:
	.section	.rodata,"a",@progbits
	.p2align	6, 0x0
	.amdhsa_kernel _ZN7rocprim17ROCPRIM_400000_NS6detail17trampoline_kernelINS0_14default_configENS1_22reduce_config_selectorI11minmax_pairIiEEEZNS1_11reduce_implILb1ES3_PS6_S9_S6_16minmax_binary_opIiEEE10hipError_tPvRmT1_T2_T3_mT4_P12ihipStream_tbEUlT_E0_NS1_11comp_targetILNS1_3genE3ELNS1_11target_archE908ELNS1_3gpuE7ELNS1_3repE0EEENS1_30default_config_static_selectorELNS0_4arch9wavefront6targetE0EEEvSF_
		.amdhsa_group_segment_fixed_size 0
		.amdhsa_private_segment_fixed_size 0
		.amdhsa_kernarg_size 64
		.amdhsa_user_sgpr_count 2
		.amdhsa_user_sgpr_dispatch_ptr 0
		.amdhsa_user_sgpr_queue_ptr 0
		.amdhsa_user_sgpr_kernarg_segment_ptr 1
		.amdhsa_user_sgpr_dispatch_id 0
		.amdhsa_user_sgpr_kernarg_preload_length 0
		.amdhsa_user_sgpr_kernarg_preload_offset 0
		.amdhsa_user_sgpr_private_segment_size 0
		.amdhsa_wavefront_size32 1
		.amdhsa_uses_dynamic_stack 0
		.amdhsa_enable_private_segment 0
		.amdhsa_system_sgpr_workgroup_id_x 1
		.amdhsa_system_sgpr_workgroup_id_y 0
		.amdhsa_system_sgpr_workgroup_id_z 0
		.amdhsa_system_sgpr_workgroup_info 0
		.amdhsa_system_vgpr_workitem_id 0
		.amdhsa_next_free_vgpr 1
		.amdhsa_next_free_sgpr 1
		.amdhsa_named_barrier_count 0
		.amdhsa_reserve_vcc 0
		.amdhsa_float_round_mode_32 0
		.amdhsa_float_round_mode_16_64 0
		.amdhsa_float_denorm_mode_32 3
		.amdhsa_float_denorm_mode_16_64 3
		.amdhsa_fp16_overflow 0
		.amdhsa_memory_ordered 1
		.amdhsa_forward_progress 1
		.amdhsa_inst_pref_size 0
		.amdhsa_round_robin_scheduling 0
		.amdhsa_exception_fp_ieee_invalid_op 0
		.amdhsa_exception_fp_denorm_src 0
		.amdhsa_exception_fp_ieee_div_zero 0
		.amdhsa_exception_fp_ieee_overflow 0
		.amdhsa_exception_fp_ieee_underflow 0
		.amdhsa_exception_fp_ieee_inexact 0
		.amdhsa_exception_int_div_zero 0
	.end_amdhsa_kernel
	.section	.text._ZN7rocprim17ROCPRIM_400000_NS6detail17trampoline_kernelINS0_14default_configENS1_22reduce_config_selectorI11minmax_pairIiEEEZNS1_11reduce_implILb1ES3_PS6_S9_S6_16minmax_binary_opIiEEE10hipError_tPvRmT1_T2_T3_mT4_P12ihipStream_tbEUlT_E0_NS1_11comp_targetILNS1_3genE3ELNS1_11target_archE908ELNS1_3gpuE7ELNS1_3repE0EEENS1_30default_config_static_selectorELNS0_4arch9wavefront6targetE0EEEvSF_,"axG",@progbits,_ZN7rocprim17ROCPRIM_400000_NS6detail17trampoline_kernelINS0_14default_configENS1_22reduce_config_selectorI11minmax_pairIiEEEZNS1_11reduce_implILb1ES3_PS6_S9_S6_16minmax_binary_opIiEEE10hipError_tPvRmT1_T2_T3_mT4_P12ihipStream_tbEUlT_E0_NS1_11comp_targetILNS1_3genE3ELNS1_11target_archE908ELNS1_3gpuE7ELNS1_3repE0EEENS1_30default_config_static_selectorELNS0_4arch9wavefront6targetE0EEEvSF_,comdat
.Lfunc_end4:
	.size	_ZN7rocprim17ROCPRIM_400000_NS6detail17trampoline_kernelINS0_14default_configENS1_22reduce_config_selectorI11minmax_pairIiEEEZNS1_11reduce_implILb1ES3_PS6_S9_S6_16minmax_binary_opIiEEE10hipError_tPvRmT1_T2_T3_mT4_P12ihipStream_tbEUlT_E0_NS1_11comp_targetILNS1_3genE3ELNS1_11target_archE908ELNS1_3gpuE7ELNS1_3repE0EEENS1_30default_config_static_selectorELNS0_4arch9wavefront6targetE0EEEvSF_, .Lfunc_end4-_ZN7rocprim17ROCPRIM_400000_NS6detail17trampoline_kernelINS0_14default_configENS1_22reduce_config_selectorI11minmax_pairIiEEEZNS1_11reduce_implILb1ES3_PS6_S9_S6_16minmax_binary_opIiEEE10hipError_tPvRmT1_T2_T3_mT4_P12ihipStream_tbEUlT_E0_NS1_11comp_targetILNS1_3genE3ELNS1_11target_archE908ELNS1_3gpuE7ELNS1_3repE0EEENS1_30default_config_static_selectorELNS0_4arch9wavefront6targetE0EEEvSF_
                                        ; -- End function
	.set _ZN7rocprim17ROCPRIM_400000_NS6detail17trampoline_kernelINS0_14default_configENS1_22reduce_config_selectorI11minmax_pairIiEEEZNS1_11reduce_implILb1ES3_PS6_S9_S6_16minmax_binary_opIiEEE10hipError_tPvRmT1_T2_T3_mT4_P12ihipStream_tbEUlT_E0_NS1_11comp_targetILNS1_3genE3ELNS1_11target_archE908ELNS1_3gpuE7ELNS1_3repE0EEENS1_30default_config_static_selectorELNS0_4arch9wavefront6targetE0EEEvSF_.num_vgpr, 0
	.set _ZN7rocprim17ROCPRIM_400000_NS6detail17trampoline_kernelINS0_14default_configENS1_22reduce_config_selectorI11minmax_pairIiEEEZNS1_11reduce_implILb1ES3_PS6_S9_S6_16minmax_binary_opIiEEE10hipError_tPvRmT1_T2_T3_mT4_P12ihipStream_tbEUlT_E0_NS1_11comp_targetILNS1_3genE3ELNS1_11target_archE908ELNS1_3gpuE7ELNS1_3repE0EEENS1_30default_config_static_selectorELNS0_4arch9wavefront6targetE0EEEvSF_.num_agpr, 0
	.set _ZN7rocprim17ROCPRIM_400000_NS6detail17trampoline_kernelINS0_14default_configENS1_22reduce_config_selectorI11minmax_pairIiEEEZNS1_11reduce_implILb1ES3_PS6_S9_S6_16minmax_binary_opIiEEE10hipError_tPvRmT1_T2_T3_mT4_P12ihipStream_tbEUlT_E0_NS1_11comp_targetILNS1_3genE3ELNS1_11target_archE908ELNS1_3gpuE7ELNS1_3repE0EEENS1_30default_config_static_selectorELNS0_4arch9wavefront6targetE0EEEvSF_.numbered_sgpr, 0
	.set _ZN7rocprim17ROCPRIM_400000_NS6detail17trampoline_kernelINS0_14default_configENS1_22reduce_config_selectorI11minmax_pairIiEEEZNS1_11reduce_implILb1ES3_PS6_S9_S6_16minmax_binary_opIiEEE10hipError_tPvRmT1_T2_T3_mT4_P12ihipStream_tbEUlT_E0_NS1_11comp_targetILNS1_3genE3ELNS1_11target_archE908ELNS1_3gpuE7ELNS1_3repE0EEENS1_30default_config_static_selectorELNS0_4arch9wavefront6targetE0EEEvSF_.num_named_barrier, 0
	.set _ZN7rocprim17ROCPRIM_400000_NS6detail17trampoline_kernelINS0_14default_configENS1_22reduce_config_selectorI11minmax_pairIiEEEZNS1_11reduce_implILb1ES3_PS6_S9_S6_16minmax_binary_opIiEEE10hipError_tPvRmT1_T2_T3_mT4_P12ihipStream_tbEUlT_E0_NS1_11comp_targetILNS1_3genE3ELNS1_11target_archE908ELNS1_3gpuE7ELNS1_3repE0EEENS1_30default_config_static_selectorELNS0_4arch9wavefront6targetE0EEEvSF_.private_seg_size, 0
	.set _ZN7rocprim17ROCPRIM_400000_NS6detail17trampoline_kernelINS0_14default_configENS1_22reduce_config_selectorI11minmax_pairIiEEEZNS1_11reduce_implILb1ES3_PS6_S9_S6_16minmax_binary_opIiEEE10hipError_tPvRmT1_T2_T3_mT4_P12ihipStream_tbEUlT_E0_NS1_11comp_targetILNS1_3genE3ELNS1_11target_archE908ELNS1_3gpuE7ELNS1_3repE0EEENS1_30default_config_static_selectorELNS0_4arch9wavefront6targetE0EEEvSF_.uses_vcc, 0
	.set _ZN7rocprim17ROCPRIM_400000_NS6detail17trampoline_kernelINS0_14default_configENS1_22reduce_config_selectorI11minmax_pairIiEEEZNS1_11reduce_implILb1ES3_PS6_S9_S6_16minmax_binary_opIiEEE10hipError_tPvRmT1_T2_T3_mT4_P12ihipStream_tbEUlT_E0_NS1_11comp_targetILNS1_3genE3ELNS1_11target_archE908ELNS1_3gpuE7ELNS1_3repE0EEENS1_30default_config_static_selectorELNS0_4arch9wavefront6targetE0EEEvSF_.uses_flat_scratch, 0
	.set _ZN7rocprim17ROCPRIM_400000_NS6detail17trampoline_kernelINS0_14default_configENS1_22reduce_config_selectorI11minmax_pairIiEEEZNS1_11reduce_implILb1ES3_PS6_S9_S6_16minmax_binary_opIiEEE10hipError_tPvRmT1_T2_T3_mT4_P12ihipStream_tbEUlT_E0_NS1_11comp_targetILNS1_3genE3ELNS1_11target_archE908ELNS1_3gpuE7ELNS1_3repE0EEENS1_30default_config_static_selectorELNS0_4arch9wavefront6targetE0EEEvSF_.has_dyn_sized_stack, 0
	.set _ZN7rocprim17ROCPRIM_400000_NS6detail17trampoline_kernelINS0_14default_configENS1_22reduce_config_selectorI11minmax_pairIiEEEZNS1_11reduce_implILb1ES3_PS6_S9_S6_16minmax_binary_opIiEEE10hipError_tPvRmT1_T2_T3_mT4_P12ihipStream_tbEUlT_E0_NS1_11comp_targetILNS1_3genE3ELNS1_11target_archE908ELNS1_3gpuE7ELNS1_3repE0EEENS1_30default_config_static_selectorELNS0_4arch9wavefront6targetE0EEEvSF_.has_recursion, 0
	.set _ZN7rocprim17ROCPRIM_400000_NS6detail17trampoline_kernelINS0_14default_configENS1_22reduce_config_selectorI11minmax_pairIiEEEZNS1_11reduce_implILb1ES3_PS6_S9_S6_16minmax_binary_opIiEEE10hipError_tPvRmT1_T2_T3_mT4_P12ihipStream_tbEUlT_E0_NS1_11comp_targetILNS1_3genE3ELNS1_11target_archE908ELNS1_3gpuE7ELNS1_3repE0EEENS1_30default_config_static_selectorELNS0_4arch9wavefront6targetE0EEEvSF_.has_indirect_call, 0
	.section	.AMDGPU.csdata,"",@progbits
; Kernel info:
; codeLenInByte = 0
; TotalNumSgprs: 0
; NumVgprs: 0
; ScratchSize: 0
; MemoryBound: 0
; FloatMode: 240
; IeeeMode: 1
; LDSByteSize: 0 bytes/workgroup (compile time only)
; SGPRBlocks: 0
; VGPRBlocks: 0
; NumSGPRsForWavesPerEU: 1
; NumVGPRsForWavesPerEU: 1
; NamedBarCnt: 0
; Occupancy: 16
; WaveLimiterHint : 0
; COMPUTE_PGM_RSRC2:SCRATCH_EN: 0
; COMPUTE_PGM_RSRC2:USER_SGPR: 2
; COMPUTE_PGM_RSRC2:TRAP_HANDLER: 0
; COMPUTE_PGM_RSRC2:TGID_X_EN: 1
; COMPUTE_PGM_RSRC2:TGID_Y_EN: 0
; COMPUTE_PGM_RSRC2:TGID_Z_EN: 0
; COMPUTE_PGM_RSRC2:TIDIG_COMP_CNT: 0
	.section	.text._ZN7rocprim17ROCPRIM_400000_NS6detail17trampoline_kernelINS0_14default_configENS1_22reduce_config_selectorI11minmax_pairIiEEEZNS1_11reduce_implILb1ES3_PS6_S9_S6_16minmax_binary_opIiEEE10hipError_tPvRmT1_T2_T3_mT4_P12ihipStream_tbEUlT_E0_NS1_11comp_targetILNS1_3genE2ELNS1_11target_archE906ELNS1_3gpuE6ELNS1_3repE0EEENS1_30default_config_static_selectorELNS0_4arch9wavefront6targetE0EEEvSF_,"axG",@progbits,_ZN7rocprim17ROCPRIM_400000_NS6detail17trampoline_kernelINS0_14default_configENS1_22reduce_config_selectorI11minmax_pairIiEEEZNS1_11reduce_implILb1ES3_PS6_S9_S6_16minmax_binary_opIiEEE10hipError_tPvRmT1_T2_T3_mT4_P12ihipStream_tbEUlT_E0_NS1_11comp_targetILNS1_3genE2ELNS1_11target_archE906ELNS1_3gpuE6ELNS1_3repE0EEENS1_30default_config_static_selectorELNS0_4arch9wavefront6targetE0EEEvSF_,comdat
	.protected	_ZN7rocprim17ROCPRIM_400000_NS6detail17trampoline_kernelINS0_14default_configENS1_22reduce_config_selectorI11minmax_pairIiEEEZNS1_11reduce_implILb1ES3_PS6_S9_S6_16minmax_binary_opIiEEE10hipError_tPvRmT1_T2_T3_mT4_P12ihipStream_tbEUlT_E0_NS1_11comp_targetILNS1_3genE2ELNS1_11target_archE906ELNS1_3gpuE6ELNS1_3repE0EEENS1_30default_config_static_selectorELNS0_4arch9wavefront6targetE0EEEvSF_ ; -- Begin function _ZN7rocprim17ROCPRIM_400000_NS6detail17trampoline_kernelINS0_14default_configENS1_22reduce_config_selectorI11minmax_pairIiEEEZNS1_11reduce_implILb1ES3_PS6_S9_S6_16minmax_binary_opIiEEE10hipError_tPvRmT1_T2_T3_mT4_P12ihipStream_tbEUlT_E0_NS1_11comp_targetILNS1_3genE2ELNS1_11target_archE906ELNS1_3gpuE6ELNS1_3repE0EEENS1_30default_config_static_selectorELNS0_4arch9wavefront6targetE0EEEvSF_
	.globl	_ZN7rocprim17ROCPRIM_400000_NS6detail17trampoline_kernelINS0_14default_configENS1_22reduce_config_selectorI11minmax_pairIiEEEZNS1_11reduce_implILb1ES3_PS6_S9_S6_16minmax_binary_opIiEEE10hipError_tPvRmT1_T2_T3_mT4_P12ihipStream_tbEUlT_E0_NS1_11comp_targetILNS1_3genE2ELNS1_11target_archE906ELNS1_3gpuE6ELNS1_3repE0EEENS1_30default_config_static_selectorELNS0_4arch9wavefront6targetE0EEEvSF_
	.p2align	8
	.type	_ZN7rocprim17ROCPRIM_400000_NS6detail17trampoline_kernelINS0_14default_configENS1_22reduce_config_selectorI11minmax_pairIiEEEZNS1_11reduce_implILb1ES3_PS6_S9_S6_16minmax_binary_opIiEEE10hipError_tPvRmT1_T2_T3_mT4_P12ihipStream_tbEUlT_E0_NS1_11comp_targetILNS1_3genE2ELNS1_11target_archE906ELNS1_3gpuE6ELNS1_3repE0EEENS1_30default_config_static_selectorELNS0_4arch9wavefront6targetE0EEEvSF_,@function
_ZN7rocprim17ROCPRIM_400000_NS6detail17trampoline_kernelINS0_14default_configENS1_22reduce_config_selectorI11minmax_pairIiEEEZNS1_11reduce_implILb1ES3_PS6_S9_S6_16minmax_binary_opIiEEE10hipError_tPvRmT1_T2_T3_mT4_P12ihipStream_tbEUlT_E0_NS1_11comp_targetILNS1_3genE2ELNS1_11target_archE906ELNS1_3gpuE6ELNS1_3repE0EEENS1_30default_config_static_selectorELNS0_4arch9wavefront6targetE0EEEvSF_: ; @_ZN7rocprim17ROCPRIM_400000_NS6detail17trampoline_kernelINS0_14default_configENS1_22reduce_config_selectorI11minmax_pairIiEEEZNS1_11reduce_implILb1ES3_PS6_S9_S6_16minmax_binary_opIiEEE10hipError_tPvRmT1_T2_T3_mT4_P12ihipStream_tbEUlT_E0_NS1_11comp_targetILNS1_3genE2ELNS1_11target_archE906ELNS1_3gpuE6ELNS1_3repE0EEENS1_30default_config_static_selectorELNS0_4arch9wavefront6targetE0EEEvSF_
; %bb.0:
	.section	.rodata,"a",@progbits
	.p2align	6, 0x0
	.amdhsa_kernel _ZN7rocprim17ROCPRIM_400000_NS6detail17trampoline_kernelINS0_14default_configENS1_22reduce_config_selectorI11minmax_pairIiEEEZNS1_11reduce_implILb1ES3_PS6_S9_S6_16minmax_binary_opIiEEE10hipError_tPvRmT1_T2_T3_mT4_P12ihipStream_tbEUlT_E0_NS1_11comp_targetILNS1_3genE2ELNS1_11target_archE906ELNS1_3gpuE6ELNS1_3repE0EEENS1_30default_config_static_selectorELNS0_4arch9wavefront6targetE0EEEvSF_
		.amdhsa_group_segment_fixed_size 0
		.amdhsa_private_segment_fixed_size 0
		.amdhsa_kernarg_size 64
		.amdhsa_user_sgpr_count 2
		.amdhsa_user_sgpr_dispatch_ptr 0
		.amdhsa_user_sgpr_queue_ptr 0
		.amdhsa_user_sgpr_kernarg_segment_ptr 1
		.amdhsa_user_sgpr_dispatch_id 0
		.amdhsa_user_sgpr_kernarg_preload_length 0
		.amdhsa_user_sgpr_kernarg_preload_offset 0
		.amdhsa_user_sgpr_private_segment_size 0
		.amdhsa_wavefront_size32 1
		.amdhsa_uses_dynamic_stack 0
		.amdhsa_enable_private_segment 0
		.amdhsa_system_sgpr_workgroup_id_x 1
		.amdhsa_system_sgpr_workgroup_id_y 0
		.amdhsa_system_sgpr_workgroup_id_z 0
		.amdhsa_system_sgpr_workgroup_info 0
		.amdhsa_system_vgpr_workitem_id 0
		.amdhsa_next_free_vgpr 1
		.amdhsa_next_free_sgpr 1
		.amdhsa_named_barrier_count 0
		.amdhsa_reserve_vcc 0
		.amdhsa_float_round_mode_32 0
		.amdhsa_float_round_mode_16_64 0
		.amdhsa_float_denorm_mode_32 3
		.amdhsa_float_denorm_mode_16_64 3
		.amdhsa_fp16_overflow 0
		.amdhsa_memory_ordered 1
		.amdhsa_forward_progress 1
		.amdhsa_inst_pref_size 0
		.amdhsa_round_robin_scheduling 0
		.amdhsa_exception_fp_ieee_invalid_op 0
		.amdhsa_exception_fp_denorm_src 0
		.amdhsa_exception_fp_ieee_div_zero 0
		.amdhsa_exception_fp_ieee_overflow 0
		.amdhsa_exception_fp_ieee_underflow 0
		.amdhsa_exception_fp_ieee_inexact 0
		.amdhsa_exception_int_div_zero 0
	.end_amdhsa_kernel
	.section	.text._ZN7rocprim17ROCPRIM_400000_NS6detail17trampoline_kernelINS0_14default_configENS1_22reduce_config_selectorI11minmax_pairIiEEEZNS1_11reduce_implILb1ES3_PS6_S9_S6_16minmax_binary_opIiEEE10hipError_tPvRmT1_T2_T3_mT4_P12ihipStream_tbEUlT_E0_NS1_11comp_targetILNS1_3genE2ELNS1_11target_archE906ELNS1_3gpuE6ELNS1_3repE0EEENS1_30default_config_static_selectorELNS0_4arch9wavefront6targetE0EEEvSF_,"axG",@progbits,_ZN7rocprim17ROCPRIM_400000_NS6detail17trampoline_kernelINS0_14default_configENS1_22reduce_config_selectorI11minmax_pairIiEEEZNS1_11reduce_implILb1ES3_PS6_S9_S6_16minmax_binary_opIiEEE10hipError_tPvRmT1_T2_T3_mT4_P12ihipStream_tbEUlT_E0_NS1_11comp_targetILNS1_3genE2ELNS1_11target_archE906ELNS1_3gpuE6ELNS1_3repE0EEENS1_30default_config_static_selectorELNS0_4arch9wavefront6targetE0EEEvSF_,comdat
.Lfunc_end5:
	.size	_ZN7rocprim17ROCPRIM_400000_NS6detail17trampoline_kernelINS0_14default_configENS1_22reduce_config_selectorI11minmax_pairIiEEEZNS1_11reduce_implILb1ES3_PS6_S9_S6_16minmax_binary_opIiEEE10hipError_tPvRmT1_T2_T3_mT4_P12ihipStream_tbEUlT_E0_NS1_11comp_targetILNS1_3genE2ELNS1_11target_archE906ELNS1_3gpuE6ELNS1_3repE0EEENS1_30default_config_static_selectorELNS0_4arch9wavefront6targetE0EEEvSF_, .Lfunc_end5-_ZN7rocprim17ROCPRIM_400000_NS6detail17trampoline_kernelINS0_14default_configENS1_22reduce_config_selectorI11minmax_pairIiEEEZNS1_11reduce_implILb1ES3_PS6_S9_S6_16minmax_binary_opIiEEE10hipError_tPvRmT1_T2_T3_mT4_P12ihipStream_tbEUlT_E0_NS1_11comp_targetILNS1_3genE2ELNS1_11target_archE906ELNS1_3gpuE6ELNS1_3repE0EEENS1_30default_config_static_selectorELNS0_4arch9wavefront6targetE0EEEvSF_
                                        ; -- End function
	.set _ZN7rocprim17ROCPRIM_400000_NS6detail17trampoline_kernelINS0_14default_configENS1_22reduce_config_selectorI11minmax_pairIiEEEZNS1_11reduce_implILb1ES3_PS6_S9_S6_16minmax_binary_opIiEEE10hipError_tPvRmT1_T2_T3_mT4_P12ihipStream_tbEUlT_E0_NS1_11comp_targetILNS1_3genE2ELNS1_11target_archE906ELNS1_3gpuE6ELNS1_3repE0EEENS1_30default_config_static_selectorELNS0_4arch9wavefront6targetE0EEEvSF_.num_vgpr, 0
	.set _ZN7rocprim17ROCPRIM_400000_NS6detail17trampoline_kernelINS0_14default_configENS1_22reduce_config_selectorI11minmax_pairIiEEEZNS1_11reduce_implILb1ES3_PS6_S9_S6_16minmax_binary_opIiEEE10hipError_tPvRmT1_T2_T3_mT4_P12ihipStream_tbEUlT_E0_NS1_11comp_targetILNS1_3genE2ELNS1_11target_archE906ELNS1_3gpuE6ELNS1_3repE0EEENS1_30default_config_static_selectorELNS0_4arch9wavefront6targetE0EEEvSF_.num_agpr, 0
	.set _ZN7rocprim17ROCPRIM_400000_NS6detail17trampoline_kernelINS0_14default_configENS1_22reduce_config_selectorI11minmax_pairIiEEEZNS1_11reduce_implILb1ES3_PS6_S9_S6_16minmax_binary_opIiEEE10hipError_tPvRmT1_T2_T3_mT4_P12ihipStream_tbEUlT_E0_NS1_11comp_targetILNS1_3genE2ELNS1_11target_archE906ELNS1_3gpuE6ELNS1_3repE0EEENS1_30default_config_static_selectorELNS0_4arch9wavefront6targetE0EEEvSF_.numbered_sgpr, 0
	.set _ZN7rocprim17ROCPRIM_400000_NS6detail17trampoline_kernelINS0_14default_configENS1_22reduce_config_selectorI11minmax_pairIiEEEZNS1_11reduce_implILb1ES3_PS6_S9_S6_16minmax_binary_opIiEEE10hipError_tPvRmT1_T2_T3_mT4_P12ihipStream_tbEUlT_E0_NS1_11comp_targetILNS1_3genE2ELNS1_11target_archE906ELNS1_3gpuE6ELNS1_3repE0EEENS1_30default_config_static_selectorELNS0_4arch9wavefront6targetE0EEEvSF_.num_named_barrier, 0
	.set _ZN7rocprim17ROCPRIM_400000_NS6detail17trampoline_kernelINS0_14default_configENS1_22reduce_config_selectorI11minmax_pairIiEEEZNS1_11reduce_implILb1ES3_PS6_S9_S6_16minmax_binary_opIiEEE10hipError_tPvRmT1_T2_T3_mT4_P12ihipStream_tbEUlT_E0_NS1_11comp_targetILNS1_3genE2ELNS1_11target_archE906ELNS1_3gpuE6ELNS1_3repE0EEENS1_30default_config_static_selectorELNS0_4arch9wavefront6targetE0EEEvSF_.private_seg_size, 0
	.set _ZN7rocprim17ROCPRIM_400000_NS6detail17trampoline_kernelINS0_14default_configENS1_22reduce_config_selectorI11minmax_pairIiEEEZNS1_11reduce_implILb1ES3_PS6_S9_S6_16minmax_binary_opIiEEE10hipError_tPvRmT1_T2_T3_mT4_P12ihipStream_tbEUlT_E0_NS1_11comp_targetILNS1_3genE2ELNS1_11target_archE906ELNS1_3gpuE6ELNS1_3repE0EEENS1_30default_config_static_selectorELNS0_4arch9wavefront6targetE0EEEvSF_.uses_vcc, 0
	.set _ZN7rocprim17ROCPRIM_400000_NS6detail17trampoline_kernelINS0_14default_configENS1_22reduce_config_selectorI11minmax_pairIiEEEZNS1_11reduce_implILb1ES3_PS6_S9_S6_16minmax_binary_opIiEEE10hipError_tPvRmT1_T2_T3_mT4_P12ihipStream_tbEUlT_E0_NS1_11comp_targetILNS1_3genE2ELNS1_11target_archE906ELNS1_3gpuE6ELNS1_3repE0EEENS1_30default_config_static_selectorELNS0_4arch9wavefront6targetE0EEEvSF_.uses_flat_scratch, 0
	.set _ZN7rocprim17ROCPRIM_400000_NS6detail17trampoline_kernelINS0_14default_configENS1_22reduce_config_selectorI11minmax_pairIiEEEZNS1_11reduce_implILb1ES3_PS6_S9_S6_16minmax_binary_opIiEEE10hipError_tPvRmT1_T2_T3_mT4_P12ihipStream_tbEUlT_E0_NS1_11comp_targetILNS1_3genE2ELNS1_11target_archE906ELNS1_3gpuE6ELNS1_3repE0EEENS1_30default_config_static_selectorELNS0_4arch9wavefront6targetE0EEEvSF_.has_dyn_sized_stack, 0
	.set _ZN7rocprim17ROCPRIM_400000_NS6detail17trampoline_kernelINS0_14default_configENS1_22reduce_config_selectorI11minmax_pairIiEEEZNS1_11reduce_implILb1ES3_PS6_S9_S6_16minmax_binary_opIiEEE10hipError_tPvRmT1_T2_T3_mT4_P12ihipStream_tbEUlT_E0_NS1_11comp_targetILNS1_3genE2ELNS1_11target_archE906ELNS1_3gpuE6ELNS1_3repE0EEENS1_30default_config_static_selectorELNS0_4arch9wavefront6targetE0EEEvSF_.has_recursion, 0
	.set _ZN7rocprim17ROCPRIM_400000_NS6detail17trampoline_kernelINS0_14default_configENS1_22reduce_config_selectorI11minmax_pairIiEEEZNS1_11reduce_implILb1ES3_PS6_S9_S6_16minmax_binary_opIiEEE10hipError_tPvRmT1_T2_T3_mT4_P12ihipStream_tbEUlT_E0_NS1_11comp_targetILNS1_3genE2ELNS1_11target_archE906ELNS1_3gpuE6ELNS1_3repE0EEENS1_30default_config_static_selectorELNS0_4arch9wavefront6targetE0EEEvSF_.has_indirect_call, 0
	.section	.AMDGPU.csdata,"",@progbits
; Kernel info:
; codeLenInByte = 0
; TotalNumSgprs: 0
; NumVgprs: 0
; ScratchSize: 0
; MemoryBound: 0
; FloatMode: 240
; IeeeMode: 1
; LDSByteSize: 0 bytes/workgroup (compile time only)
; SGPRBlocks: 0
; VGPRBlocks: 0
; NumSGPRsForWavesPerEU: 1
; NumVGPRsForWavesPerEU: 1
; NamedBarCnt: 0
; Occupancy: 16
; WaveLimiterHint : 0
; COMPUTE_PGM_RSRC2:SCRATCH_EN: 0
; COMPUTE_PGM_RSRC2:USER_SGPR: 2
; COMPUTE_PGM_RSRC2:TRAP_HANDLER: 0
; COMPUTE_PGM_RSRC2:TGID_X_EN: 1
; COMPUTE_PGM_RSRC2:TGID_Y_EN: 0
; COMPUTE_PGM_RSRC2:TGID_Z_EN: 0
; COMPUTE_PGM_RSRC2:TIDIG_COMP_CNT: 0
	.section	.text._ZN7rocprim17ROCPRIM_400000_NS6detail17trampoline_kernelINS0_14default_configENS1_22reduce_config_selectorI11minmax_pairIiEEEZNS1_11reduce_implILb1ES3_PS6_S9_S6_16minmax_binary_opIiEEE10hipError_tPvRmT1_T2_T3_mT4_P12ihipStream_tbEUlT_E0_NS1_11comp_targetILNS1_3genE10ELNS1_11target_archE1201ELNS1_3gpuE5ELNS1_3repE0EEENS1_30default_config_static_selectorELNS0_4arch9wavefront6targetE0EEEvSF_,"axG",@progbits,_ZN7rocprim17ROCPRIM_400000_NS6detail17trampoline_kernelINS0_14default_configENS1_22reduce_config_selectorI11minmax_pairIiEEEZNS1_11reduce_implILb1ES3_PS6_S9_S6_16minmax_binary_opIiEEE10hipError_tPvRmT1_T2_T3_mT4_P12ihipStream_tbEUlT_E0_NS1_11comp_targetILNS1_3genE10ELNS1_11target_archE1201ELNS1_3gpuE5ELNS1_3repE0EEENS1_30default_config_static_selectorELNS0_4arch9wavefront6targetE0EEEvSF_,comdat
	.protected	_ZN7rocprim17ROCPRIM_400000_NS6detail17trampoline_kernelINS0_14default_configENS1_22reduce_config_selectorI11minmax_pairIiEEEZNS1_11reduce_implILb1ES3_PS6_S9_S6_16minmax_binary_opIiEEE10hipError_tPvRmT1_T2_T3_mT4_P12ihipStream_tbEUlT_E0_NS1_11comp_targetILNS1_3genE10ELNS1_11target_archE1201ELNS1_3gpuE5ELNS1_3repE0EEENS1_30default_config_static_selectorELNS0_4arch9wavefront6targetE0EEEvSF_ ; -- Begin function _ZN7rocprim17ROCPRIM_400000_NS6detail17trampoline_kernelINS0_14default_configENS1_22reduce_config_selectorI11minmax_pairIiEEEZNS1_11reduce_implILb1ES3_PS6_S9_S6_16minmax_binary_opIiEEE10hipError_tPvRmT1_T2_T3_mT4_P12ihipStream_tbEUlT_E0_NS1_11comp_targetILNS1_3genE10ELNS1_11target_archE1201ELNS1_3gpuE5ELNS1_3repE0EEENS1_30default_config_static_selectorELNS0_4arch9wavefront6targetE0EEEvSF_
	.globl	_ZN7rocprim17ROCPRIM_400000_NS6detail17trampoline_kernelINS0_14default_configENS1_22reduce_config_selectorI11minmax_pairIiEEEZNS1_11reduce_implILb1ES3_PS6_S9_S6_16minmax_binary_opIiEEE10hipError_tPvRmT1_T2_T3_mT4_P12ihipStream_tbEUlT_E0_NS1_11comp_targetILNS1_3genE10ELNS1_11target_archE1201ELNS1_3gpuE5ELNS1_3repE0EEENS1_30default_config_static_selectorELNS0_4arch9wavefront6targetE0EEEvSF_
	.p2align	8
	.type	_ZN7rocprim17ROCPRIM_400000_NS6detail17trampoline_kernelINS0_14default_configENS1_22reduce_config_selectorI11minmax_pairIiEEEZNS1_11reduce_implILb1ES3_PS6_S9_S6_16minmax_binary_opIiEEE10hipError_tPvRmT1_T2_T3_mT4_P12ihipStream_tbEUlT_E0_NS1_11comp_targetILNS1_3genE10ELNS1_11target_archE1201ELNS1_3gpuE5ELNS1_3repE0EEENS1_30default_config_static_selectorELNS0_4arch9wavefront6targetE0EEEvSF_,@function
_ZN7rocprim17ROCPRIM_400000_NS6detail17trampoline_kernelINS0_14default_configENS1_22reduce_config_selectorI11minmax_pairIiEEEZNS1_11reduce_implILb1ES3_PS6_S9_S6_16minmax_binary_opIiEEE10hipError_tPvRmT1_T2_T3_mT4_P12ihipStream_tbEUlT_E0_NS1_11comp_targetILNS1_3genE10ELNS1_11target_archE1201ELNS1_3gpuE5ELNS1_3repE0EEENS1_30default_config_static_selectorELNS0_4arch9wavefront6targetE0EEEvSF_: ; @_ZN7rocprim17ROCPRIM_400000_NS6detail17trampoline_kernelINS0_14default_configENS1_22reduce_config_selectorI11minmax_pairIiEEEZNS1_11reduce_implILb1ES3_PS6_S9_S6_16minmax_binary_opIiEEE10hipError_tPvRmT1_T2_T3_mT4_P12ihipStream_tbEUlT_E0_NS1_11comp_targetILNS1_3genE10ELNS1_11target_archE1201ELNS1_3gpuE5ELNS1_3repE0EEENS1_30default_config_static_selectorELNS0_4arch9wavefront6targetE0EEEvSF_
; %bb.0:
	.section	.rodata,"a",@progbits
	.p2align	6, 0x0
	.amdhsa_kernel _ZN7rocprim17ROCPRIM_400000_NS6detail17trampoline_kernelINS0_14default_configENS1_22reduce_config_selectorI11minmax_pairIiEEEZNS1_11reduce_implILb1ES3_PS6_S9_S6_16minmax_binary_opIiEEE10hipError_tPvRmT1_T2_T3_mT4_P12ihipStream_tbEUlT_E0_NS1_11comp_targetILNS1_3genE10ELNS1_11target_archE1201ELNS1_3gpuE5ELNS1_3repE0EEENS1_30default_config_static_selectorELNS0_4arch9wavefront6targetE0EEEvSF_
		.amdhsa_group_segment_fixed_size 0
		.amdhsa_private_segment_fixed_size 0
		.amdhsa_kernarg_size 64
		.amdhsa_user_sgpr_count 2
		.amdhsa_user_sgpr_dispatch_ptr 0
		.amdhsa_user_sgpr_queue_ptr 0
		.amdhsa_user_sgpr_kernarg_segment_ptr 1
		.amdhsa_user_sgpr_dispatch_id 0
		.amdhsa_user_sgpr_kernarg_preload_length 0
		.amdhsa_user_sgpr_kernarg_preload_offset 0
		.amdhsa_user_sgpr_private_segment_size 0
		.amdhsa_wavefront_size32 1
		.amdhsa_uses_dynamic_stack 0
		.amdhsa_enable_private_segment 0
		.amdhsa_system_sgpr_workgroup_id_x 1
		.amdhsa_system_sgpr_workgroup_id_y 0
		.amdhsa_system_sgpr_workgroup_id_z 0
		.amdhsa_system_sgpr_workgroup_info 0
		.amdhsa_system_vgpr_workitem_id 0
		.amdhsa_next_free_vgpr 1
		.amdhsa_next_free_sgpr 1
		.amdhsa_named_barrier_count 0
		.amdhsa_reserve_vcc 0
		.amdhsa_float_round_mode_32 0
		.amdhsa_float_round_mode_16_64 0
		.amdhsa_float_denorm_mode_32 3
		.amdhsa_float_denorm_mode_16_64 3
		.amdhsa_fp16_overflow 0
		.amdhsa_memory_ordered 1
		.amdhsa_forward_progress 1
		.amdhsa_inst_pref_size 0
		.amdhsa_round_robin_scheduling 0
		.amdhsa_exception_fp_ieee_invalid_op 0
		.amdhsa_exception_fp_denorm_src 0
		.amdhsa_exception_fp_ieee_div_zero 0
		.amdhsa_exception_fp_ieee_overflow 0
		.amdhsa_exception_fp_ieee_underflow 0
		.amdhsa_exception_fp_ieee_inexact 0
		.amdhsa_exception_int_div_zero 0
	.end_amdhsa_kernel
	.section	.text._ZN7rocprim17ROCPRIM_400000_NS6detail17trampoline_kernelINS0_14default_configENS1_22reduce_config_selectorI11minmax_pairIiEEEZNS1_11reduce_implILb1ES3_PS6_S9_S6_16minmax_binary_opIiEEE10hipError_tPvRmT1_T2_T3_mT4_P12ihipStream_tbEUlT_E0_NS1_11comp_targetILNS1_3genE10ELNS1_11target_archE1201ELNS1_3gpuE5ELNS1_3repE0EEENS1_30default_config_static_selectorELNS0_4arch9wavefront6targetE0EEEvSF_,"axG",@progbits,_ZN7rocprim17ROCPRIM_400000_NS6detail17trampoline_kernelINS0_14default_configENS1_22reduce_config_selectorI11minmax_pairIiEEEZNS1_11reduce_implILb1ES3_PS6_S9_S6_16minmax_binary_opIiEEE10hipError_tPvRmT1_T2_T3_mT4_P12ihipStream_tbEUlT_E0_NS1_11comp_targetILNS1_3genE10ELNS1_11target_archE1201ELNS1_3gpuE5ELNS1_3repE0EEENS1_30default_config_static_selectorELNS0_4arch9wavefront6targetE0EEEvSF_,comdat
.Lfunc_end6:
	.size	_ZN7rocprim17ROCPRIM_400000_NS6detail17trampoline_kernelINS0_14default_configENS1_22reduce_config_selectorI11minmax_pairIiEEEZNS1_11reduce_implILb1ES3_PS6_S9_S6_16minmax_binary_opIiEEE10hipError_tPvRmT1_T2_T3_mT4_P12ihipStream_tbEUlT_E0_NS1_11comp_targetILNS1_3genE10ELNS1_11target_archE1201ELNS1_3gpuE5ELNS1_3repE0EEENS1_30default_config_static_selectorELNS0_4arch9wavefront6targetE0EEEvSF_, .Lfunc_end6-_ZN7rocprim17ROCPRIM_400000_NS6detail17trampoline_kernelINS0_14default_configENS1_22reduce_config_selectorI11minmax_pairIiEEEZNS1_11reduce_implILb1ES3_PS6_S9_S6_16minmax_binary_opIiEEE10hipError_tPvRmT1_T2_T3_mT4_P12ihipStream_tbEUlT_E0_NS1_11comp_targetILNS1_3genE10ELNS1_11target_archE1201ELNS1_3gpuE5ELNS1_3repE0EEENS1_30default_config_static_selectorELNS0_4arch9wavefront6targetE0EEEvSF_
                                        ; -- End function
	.set _ZN7rocprim17ROCPRIM_400000_NS6detail17trampoline_kernelINS0_14default_configENS1_22reduce_config_selectorI11minmax_pairIiEEEZNS1_11reduce_implILb1ES3_PS6_S9_S6_16minmax_binary_opIiEEE10hipError_tPvRmT1_T2_T3_mT4_P12ihipStream_tbEUlT_E0_NS1_11comp_targetILNS1_3genE10ELNS1_11target_archE1201ELNS1_3gpuE5ELNS1_3repE0EEENS1_30default_config_static_selectorELNS0_4arch9wavefront6targetE0EEEvSF_.num_vgpr, 0
	.set _ZN7rocprim17ROCPRIM_400000_NS6detail17trampoline_kernelINS0_14default_configENS1_22reduce_config_selectorI11minmax_pairIiEEEZNS1_11reduce_implILb1ES3_PS6_S9_S6_16minmax_binary_opIiEEE10hipError_tPvRmT1_T2_T3_mT4_P12ihipStream_tbEUlT_E0_NS1_11comp_targetILNS1_3genE10ELNS1_11target_archE1201ELNS1_3gpuE5ELNS1_3repE0EEENS1_30default_config_static_selectorELNS0_4arch9wavefront6targetE0EEEvSF_.num_agpr, 0
	.set _ZN7rocprim17ROCPRIM_400000_NS6detail17trampoline_kernelINS0_14default_configENS1_22reduce_config_selectorI11minmax_pairIiEEEZNS1_11reduce_implILb1ES3_PS6_S9_S6_16minmax_binary_opIiEEE10hipError_tPvRmT1_T2_T3_mT4_P12ihipStream_tbEUlT_E0_NS1_11comp_targetILNS1_3genE10ELNS1_11target_archE1201ELNS1_3gpuE5ELNS1_3repE0EEENS1_30default_config_static_selectorELNS0_4arch9wavefront6targetE0EEEvSF_.numbered_sgpr, 0
	.set _ZN7rocprim17ROCPRIM_400000_NS6detail17trampoline_kernelINS0_14default_configENS1_22reduce_config_selectorI11minmax_pairIiEEEZNS1_11reduce_implILb1ES3_PS6_S9_S6_16minmax_binary_opIiEEE10hipError_tPvRmT1_T2_T3_mT4_P12ihipStream_tbEUlT_E0_NS1_11comp_targetILNS1_3genE10ELNS1_11target_archE1201ELNS1_3gpuE5ELNS1_3repE0EEENS1_30default_config_static_selectorELNS0_4arch9wavefront6targetE0EEEvSF_.num_named_barrier, 0
	.set _ZN7rocprim17ROCPRIM_400000_NS6detail17trampoline_kernelINS0_14default_configENS1_22reduce_config_selectorI11minmax_pairIiEEEZNS1_11reduce_implILb1ES3_PS6_S9_S6_16minmax_binary_opIiEEE10hipError_tPvRmT1_T2_T3_mT4_P12ihipStream_tbEUlT_E0_NS1_11comp_targetILNS1_3genE10ELNS1_11target_archE1201ELNS1_3gpuE5ELNS1_3repE0EEENS1_30default_config_static_selectorELNS0_4arch9wavefront6targetE0EEEvSF_.private_seg_size, 0
	.set _ZN7rocprim17ROCPRIM_400000_NS6detail17trampoline_kernelINS0_14default_configENS1_22reduce_config_selectorI11minmax_pairIiEEEZNS1_11reduce_implILb1ES3_PS6_S9_S6_16minmax_binary_opIiEEE10hipError_tPvRmT1_T2_T3_mT4_P12ihipStream_tbEUlT_E0_NS1_11comp_targetILNS1_3genE10ELNS1_11target_archE1201ELNS1_3gpuE5ELNS1_3repE0EEENS1_30default_config_static_selectorELNS0_4arch9wavefront6targetE0EEEvSF_.uses_vcc, 0
	.set _ZN7rocprim17ROCPRIM_400000_NS6detail17trampoline_kernelINS0_14default_configENS1_22reduce_config_selectorI11minmax_pairIiEEEZNS1_11reduce_implILb1ES3_PS6_S9_S6_16minmax_binary_opIiEEE10hipError_tPvRmT1_T2_T3_mT4_P12ihipStream_tbEUlT_E0_NS1_11comp_targetILNS1_3genE10ELNS1_11target_archE1201ELNS1_3gpuE5ELNS1_3repE0EEENS1_30default_config_static_selectorELNS0_4arch9wavefront6targetE0EEEvSF_.uses_flat_scratch, 0
	.set _ZN7rocprim17ROCPRIM_400000_NS6detail17trampoline_kernelINS0_14default_configENS1_22reduce_config_selectorI11minmax_pairIiEEEZNS1_11reduce_implILb1ES3_PS6_S9_S6_16minmax_binary_opIiEEE10hipError_tPvRmT1_T2_T3_mT4_P12ihipStream_tbEUlT_E0_NS1_11comp_targetILNS1_3genE10ELNS1_11target_archE1201ELNS1_3gpuE5ELNS1_3repE0EEENS1_30default_config_static_selectorELNS0_4arch9wavefront6targetE0EEEvSF_.has_dyn_sized_stack, 0
	.set _ZN7rocprim17ROCPRIM_400000_NS6detail17trampoline_kernelINS0_14default_configENS1_22reduce_config_selectorI11minmax_pairIiEEEZNS1_11reduce_implILb1ES3_PS6_S9_S6_16minmax_binary_opIiEEE10hipError_tPvRmT1_T2_T3_mT4_P12ihipStream_tbEUlT_E0_NS1_11comp_targetILNS1_3genE10ELNS1_11target_archE1201ELNS1_3gpuE5ELNS1_3repE0EEENS1_30default_config_static_selectorELNS0_4arch9wavefront6targetE0EEEvSF_.has_recursion, 0
	.set _ZN7rocprim17ROCPRIM_400000_NS6detail17trampoline_kernelINS0_14default_configENS1_22reduce_config_selectorI11minmax_pairIiEEEZNS1_11reduce_implILb1ES3_PS6_S9_S6_16minmax_binary_opIiEEE10hipError_tPvRmT1_T2_T3_mT4_P12ihipStream_tbEUlT_E0_NS1_11comp_targetILNS1_3genE10ELNS1_11target_archE1201ELNS1_3gpuE5ELNS1_3repE0EEENS1_30default_config_static_selectorELNS0_4arch9wavefront6targetE0EEEvSF_.has_indirect_call, 0
	.section	.AMDGPU.csdata,"",@progbits
; Kernel info:
; codeLenInByte = 0
; TotalNumSgprs: 0
; NumVgprs: 0
; ScratchSize: 0
; MemoryBound: 0
; FloatMode: 240
; IeeeMode: 1
; LDSByteSize: 0 bytes/workgroup (compile time only)
; SGPRBlocks: 0
; VGPRBlocks: 0
; NumSGPRsForWavesPerEU: 1
; NumVGPRsForWavesPerEU: 1
; NamedBarCnt: 0
; Occupancy: 16
; WaveLimiterHint : 0
; COMPUTE_PGM_RSRC2:SCRATCH_EN: 0
; COMPUTE_PGM_RSRC2:USER_SGPR: 2
; COMPUTE_PGM_RSRC2:TRAP_HANDLER: 0
; COMPUTE_PGM_RSRC2:TGID_X_EN: 1
; COMPUTE_PGM_RSRC2:TGID_Y_EN: 0
; COMPUTE_PGM_RSRC2:TGID_Z_EN: 0
; COMPUTE_PGM_RSRC2:TIDIG_COMP_CNT: 0
	.section	.text._ZN7rocprim17ROCPRIM_400000_NS6detail17trampoline_kernelINS0_14default_configENS1_22reduce_config_selectorI11minmax_pairIiEEEZNS1_11reduce_implILb1ES3_PS6_S9_S6_16minmax_binary_opIiEEE10hipError_tPvRmT1_T2_T3_mT4_P12ihipStream_tbEUlT_E0_NS1_11comp_targetILNS1_3genE10ELNS1_11target_archE1200ELNS1_3gpuE4ELNS1_3repE0EEENS1_30default_config_static_selectorELNS0_4arch9wavefront6targetE0EEEvSF_,"axG",@progbits,_ZN7rocprim17ROCPRIM_400000_NS6detail17trampoline_kernelINS0_14default_configENS1_22reduce_config_selectorI11minmax_pairIiEEEZNS1_11reduce_implILb1ES3_PS6_S9_S6_16minmax_binary_opIiEEE10hipError_tPvRmT1_T2_T3_mT4_P12ihipStream_tbEUlT_E0_NS1_11comp_targetILNS1_3genE10ELNS1_11target_archE1200ELNS1_3gpuE4ELNS1_3repE0EEENS1_30default_config_static_selectorELNS0_4arch9wavefront6targetE0EEEvSF_,comdat
	.protected	_ZN7rocprim17ROCPRIM_400000_NS6detail17trampoline_kernelINS0_14default_configENS1_22reduce_config_selectorI11minmax_pairIiEEEZNS1_11reduce_implILb1ES3_PS6_S9_S6_16minmax_binary_opIiEEE10hipError_tPvRmT1_T2_T3_mT4_P12ihipStream_tbEUlT_E0_NS1_11comp_targetILNS1_3genE10ELNS1_11target_archE1200ELNS1_3gpuE4ELNS1_3repE0EEENS1_30default_config_static_selectorELNS0_4arch9wavefront6targetE0EEEvSF_ ; -- Begin function _ZN7rocprim17ROCPRIM_400000_NS6detail17trampoline_kernelINS0_14default_configENS1_22reduce_config_selectorI11minmax_pairIiEEEZNS1_11reduce_implILb1ES3_PS6_S9_S6_16minmax_binary_opIiEEE10hipError_tPvRmT1_T2_T3_mT4_P12ihipStream_tbEUlT_E0_NS1_11comp_targetILNS1_3genE10ELNS1_11target_archE1200ELNS1_3gpuE4ELNS1_3repE0EEENS1_30default_config_static_selectorELNS0_4arch9wavefront6targetE0EEEvSF_
	.globl	_ZN7rocprim17ROCPRIM_400000_NS6detail17trampoline_kernelINS0_14default_configENS1_22reduce_config_selectorI11minmax_pairIiEEEZNS1_11reduce_implILb1ES3_PS6_S9_S6_16minmax_binary_opIiEEE10hipError_tPvRmT1_T2_T3_mT4_P12ihipStream_tbEUlT_E0_NS1_11comp_targetILNS1_3genE10ELNS1_11target_archE1200ELNS1_3gpuE4ELNS1_3repE0EEENS1_30default_config_static_selectorELNS0_4arch9wavefront6targetE0EEEvSF_
	.p2align	8
	.type	_ZN7rocprim17ROCPRIM_400000_NS6detail17trampoline_kernelINS0_14default_configENS1_22reduce_config_selectorI11minmax_pairIiEEEZNS1_11reduce_implILb1ES3_PS6_S9_S6_16minmax_binary_opIiEEE10hipError_tPvRmT1_T2_T3_mT4_P12ihipStream_tbEUlT_E0_NS1_11comp_targetILNS1_3genE10ELNS1_11target_archE1200ELNS1_3gpuE4ELNS1_3repE0EEENS1_30default_config_static_selectorELNS0_4arch9wavefront6targetE0EEEvSF_,@function
_ZN7rocprim17ROCPRIM_400000_NS6detail17trampoline_kernelINS0_14default_configENS1_22reduce_config_selectorI11minmax_pairIiEEEZNS1_11reduce_implILb1ES3_PS6_S9_S6_16minmax_binary_opIiEEE10hipError_tPvRmT1_T2_T3_mT4_P12ihipStream_tbEUlT_E0_NS1_11comp_targetILNS1_3genE10ELNS1_11target_archE1200ELNS1_3gpuE4ELNS1_3repE0EEENS1_30default_config_static_selectorELNS0_4arch9wavefront6targetE0EEEvSF_: ; @_ZN7rocprim17ROCPRIM_400000_NS6detail17trampoline_kernelINS0_14default_configENS1_22reduce_config_selectorI11minmax_pairIiEEEZNS1_11reduce_implILb1ES3_PS6_S9_S6_16minmax_binary_opIiEEE10hipError_tPvRmT1_T2_T3_mT4_P12ihipStream_tbEUlT_E0_NS1_11comp_targetILNS1_3genE10ELNS1_11target_archE1200ELNS1_3gpuE4ELNS1_3repE0EEENS1_30default_config_static_selectorELNS0_4arch9wavefront6targetE0EEEvSF_
; %bb.0:
	.section	.rodata,"a",@progbits
	.p2align	6, 0x0
	.amdhsa_kernel _ZN7rocprim17ROCPRIM_400000_NS6detail17trampoline_kernelINS0_14default_configENS1_22reduce_config_selectorI11minmax_pairIiEEEZNS1_11reduce_implILb1ES3_PS6_S9_S6_16minmax_binary_opIiEEE10hipError_tPvRmT1_T2_T3_mT4_P12ihipStream_tbEUlT_E0_NS1_11comp_targetILNS1_3genE10ELNS1_11target_archE1200ELNS1_3gpuE4ELNS1_3repE0EEENS1_30default_config_static_selectorELNS0_4arch9wavefront6targetE0EEEvSF_
		.amdhsa_group_segment_fixed_size 0
		.amdhsa_private_segment_fixed_size 0
		.amdhsa_kernarg_size 64
		.amdhsa_user_sgpr_count 2
		.amdhsa_user_sgpr_dispatch_ptr 0
		.amdhsa_user_sgpr_queue_ptr 0
		.amdhsa_user_sgpr_kernarg_segment_ptr 1
		.amdhsa_user_sgpr_dispatch_id 0
		.amdhsa_user_sgpr_kernarg_preload_length 0
		.amdhsa_user_sgpr_kernarg_preload_offset 0
		.amdhsa_user_sgpr_private_segment_size 0
		.amdhsa_wavefront_size32 1
		.amdhsa_uses_dynamic_stack 0
		.amdhsa_enable_private_segment 0
		.amdhsa_system_sgpr_workgroup_id_x 1
		.amdhsa_system_sgpr_workgroup_id_y 0
		.amdhsa_system_sgpr_workgroup_id_z 0
		.amdhsa_system_sgpr_workgroup_info 0
		.amdhsa_system_vgpr_workitem_id 0
		.amdhsa_next_free_vgpr 1
		.amdhsa_next_free_sgpr 1
		.amdhsa_named_barrier_count 0
		.amdhsa_reserve_vcc 0
		.amdhsa_float_round_mode_32 0
		.amdhsa_float_round_mode_16_64 0
		.amdhsa_float_denorm_mode_32 3
		.amdhsa_float_denorm_mode_16_64 3
		.amdhsa_fp16_overflow 0
		.amdhsa_memory_ordered 1
		.amdhsa_forward_progress 1
		.amdhsa_inst_pref_size 0
		.amdhsa_round_robin_scheduling 0
		.amdhsa_exception_fp_ieee_invalid_op 0
		.amdhsa_exception_fp_denorm_src 0
		.amdhsa_exception_fp_ieee_div_zero 0
		.amdhsa_exception_fp_ieee_overflow 0
		.amdhsa_exception_fp_ieee_underflow 0
		.amdhsa_exception_fp_ieee_inexact 0
		.amdhsa_exception_int_div_zero 0
	.end_amdhsa_kernel
	.section	.text._ZN7rocprim17ROCPRIM_400000_NS6detail17trampoline_kernelINS0_14default_configENS1_22reduce_config_selectorI11minmax_pairIiEEEZNS1_11reduce_implILb1ES3_PS6_S9_S6_16minmax_binary_opIiEEE10hipError_tPvRmT1_T2_T3_mT4_P12ihipStream_tbEUlT_E0_NS1_11comp_targetILNS1_3genE10ELNS1_11target_archE1200ELNS1_3gpuE4ELNS1_3repE0EEENS1_30default_config_static_selectorELNS0_4arch9wavefront6targetE0EEEvSF_,"axG",@progbits,_ZN7rocprim17ROCPRIM_400000_NS6detail17trampoline_kernelINS0_14default_configENS1_22reduce_config_selectorI11minmax_pairIiEEEZNS1_11reduce_implILb1ES3_PS6_S9_S6_16minmax_binary_opIiEEE10hipError_tPvRmT1_T2_T3_mT4_P12ihipStream_tbEUlT_E0_NS1_11comp_targetILNS1_3genE10ELNS1_11target_archE1200ELNS1_3gpuE4ELNS1_3repE0EEENS1_30default_config_static_selectorELNS0_4arch9wavefront6targetE0EEEvSF_,comdat
.Lfunc_end7:
	.size	_ZN7rocprim17ROCPRIM_400000_NS6detail17trampoline_kernelINS0_14default_configENS1_22reduce_config_selectorI11minmax_pairIiEEEZNS1_11reduce_implILb1ES3_PS6_S9_S6_16minmax_binary_opIiEEE10hipError_tPvRmT1_T2_T3_mT4_P12ihipStream_tbEUlT_E0_NS1_11comp_targetILNS1_3genE10ELNS1_11target_archE1200ELNS1_3gpuE4ELNS1_3repE0EEENS1_30default_config_static_selectorELNS0_4arch9wavefront6targetE0EEEvSF_, .Lfunc_end7-_ZN7rocprim17ROCPRIM_400000_NS6detail17trampoline_kernelINS0_14default_configENS1_22reduce_config_selectorI11minmax_pairIiEEEZNS1_11reduce_implILb1ES3_PS6_S9_S6_16minmax_binary_opIiEEE10hipError_tPvRmT1_T2_T3_mT4_P12ihipStream_tbEUlT_E0_NS1_11comp_targetILNS1_3genE10ELNS1_11target_archE1200ELNS1_3gpuE4ELNS1_3repE0EEENS1_30default_config_static_selectorELNS0_4arch9wavefront6targetE0EEEvSF_
                                        ; -- End function
	.set _ZN7rocprim17ROCPRIM_400000_NS6detail17trampoline_kernelINS0_14default_configENS1_22reduce_config_selectorI11minmax_pairIiEEEZNS1_11reduce_implILb1ES3_PS6_S9_S6_16minmax_binary_opIiEEE10hipError_tPvRmT1_T2_T3_mT4_P12ihipStream_tbEUlT_E0_NS1_11comp_targetILNS1_3genE10ELNS1_11target_archE1200ELNS1_3gpuE4ELNS1_3repE0EEENS1_30default_config_static_selectorELNS0_4arch9wavefront6targetE0EEEvSF_.num_vgpr, 0
	.set _ZN7rocprim17ROCPRIM_400000_NS6detail17trampoline_kernelINS0_14default_configENS1_22reduce_config_selectorI11minmax_pairIiEEEZNS1_11reduce_implILb1ES3_PS6_S9_S6_16minmax_binary_opIiEEE10hipError_tPvRmT1_T2_T3_mT4_P12ihipStream_tbEUlT_E0_NS1_11comp_targetILNS1_3genE10ELNS1_11target_archE1200ELNS1_3gpuE4ELNS1_3repE0EEENS1_30default_config_static_selectorELNS0_4arch9wavefront6targetE0EEEvSF_.num_agpr, 0
	.set _ZN7rocprim17ROCPRIM_400000_NS6detail17trampoline_kernelINS0_14default_configENS1_22reduce_config_selectorI11minmax_pairIiEEEZNS1_11reduce_implILb1ES3_PS6_S9_S6_16minmax_binary_opIiEEE10hipError_tPvRmT1_T2_T3_mT4_P12ihipStream_tbEUlT_E0_NS1_11comp_targetILNS1_3genE10ELNS1_11target_archE1200ELNS1_3gpuE4ELNS1_3repE0EEENS1_30default_config_static_selectorELNS0_4arch9wavefront6targetE0EEEvSF_.numbered_sgpr, 0
	.set _ZN7rocprim17ROCPRIM_400000_NS6detail17trampoline_kernelINS0_14default_configENS1_22reduce_config_selectorI11minmax_pairIiEEEZNS1_11reduce_implILb1ES3_PS6_S9_S6_16minmax_binary_opIiEEE10hipError_tPvRmT1_T2_T3_mT4_P12ihipStream_tbEUlT_E0_NS1_11comp_targetILNS1_3genE10ELNS1_11target_archE1200ELNS1_3gpuE4ELNS1_3repE0EEENS1_30default_config_static_selectorELNS0_4arch9wavefront6targetE0EEEvSF_.num_named_barrier, 0
	.set _ZN7rocprim17ROCPRIM_400000_NS6detail17trampoline_kernelINS0_14default_configENS1_22reduce_config_selectorI11minmax_pairIiEEEZNS1_11reduce_implILb1ES3_PS6_S9_S6_16minmax_binary_opIiEEE10hipError_tPvRmT1_T2_T3_mT4_P12ihipStream_tbEUlT_E0_NS1_11comp_targetILNS1_3genE10ELNS1_11target_archE1200ELNS1_3gpuE4ELNS1_3repE0EEENS1_30default_config_static_selectorELNS0_4arch9wavefront6targetE0EEEvSF_.private_seg_size, 0
	.set _ZN7rocprim17ROCPRIM_400000_NS6detail17trampoline_kernelINS0_14default_configENS1_22reduce_config_selectorI11minmax_pairIiEEEZNS1_11reduce_implILb1ES3_PS6_S9_S6_16minmax_binary_opIiEEE10hipError_tPvRmT1_T2_T3_mT4_P12ihipStream_tbEUlT_E0_NS1_11comp_targetILNS1_3genE10ELNS1_11target_archE1200ELNS1_3gpuE4ELNS1_3repE0EEENS1_30default_config_static_selectorELNS0_4arch9wavefront6targetE0EEEvSF_.uses_vcc, 0
	.set _ZN7rocprim17ROCPRIM_400000_NS6detail17trampoline_kernelINS0_14default_configENS1_22reduce_config_selectorI11minmax_pairIiEEEZNS1_11reduce_implILb1ES3_PS6_S9_S6_16minmax_binary_opIiEEE10hipError_tPvRmT1_T2_T3_mT4_P12ihipStream_tbEUlT_E0_NS1_11comp_targetILNS1_3genE10ELNS1_11target_archE1200ELNS1_3gpuE4ELNS1_3repE0EEENS1_30default_config_static_selectorELNS0_4arch9wavefront6targetE0EEEvSF_.uses_flat_scratch, 0
	.set _ZN7rocprim17ROCPRIM_400000_NS6detail17trampoline_kernelINS0_14default_configENS1_22reduce_config_selectorI11minmax_pairIiEEEZNS1_11reduce_implILb1ES3_PS6_S9_S6_16minmax_binary_opIiEEE10hipError_tPvRmT1_T2_T3_mT4_P12ihipStream_tbEUlT_E0_NS1_11comp_targetILNS1_3genE10ELNS1_11target_archE1200ELNS1_3gpuE4ELNS1_3repE0EEENS1_30default_config_static_selectorELNS0_4arch9wavefront6targetE0EEEvSF_.has_dyn_sized_stack, 0
	.set _ZN7rocprim17ROCPRIM_400000_NS6detail17trampoline_kernelINS0_14default_configENS1_22reduce_config_selectorI11minmax_pairIiEEEZNS1_11reduce_implILb1ES3_PS6_S9_S6_16minmax_binary_opIiEEE10hipError_tPvRmT1_T2_T3_mT4_P12ihipStream_tbEUlT_E0_NS1_11comp_targetILNS1_3genE10ELNS1_11target_archE1200ELNS1_3gpuE4ELNS1_3repE0EEENS1_30default_config_static_selectorELNS0_4arch9wavefront6targetE0EEEvSF_.has_recursion, 0
	.set _ZN7rocprim17ROCPRIM_400000_NS6detail17trampoline_kernelINS0_14default_configENS1_22reduce_config_selectorI11minmax_pairIiEEEZNS1_11reduce_implILb1ES3_PS6_S9_S6_16minmax_binary_opIiEEE10hipError_tPvRmT1_T2_T3_mT4_P12ihipStream_tbEUlT_E0_NS1_11comp_targetILNS1_3genE10ELNS1_11target_archE1200ELNS1_3gpuE4ELNS1_3repE0EEENS1_30default_config_static_selectorELNS0_4arch9wavefront6targetE0EEEvSF_.has_indirect_call, 0
	.section	.AMDGPU.csdata,"",@progbits
; Kernel info:
; codeLenInByte = 0
; TotalNumSgprs: 0
; NumVgprs: 0
; ScratchSize: 0
; MemoryBound: 0
; FloatMode: 240
; IeeeMode: 1
; LDSByteSize: 0 bytes/workgroup (compile time only)
; SGPRBlocks: 0
; VGPRBlocks: 0
; NumSGPRsForWavesPerEU: 1
; NumVGPRsForWavesPerEU: 1
; NamedBarCnt: 0
; Occupancy: 16
; WaveLimiterHint : 0
; COMPUTE_PGM_RSRC2:SCRATCH_EN: 0
; COMPUTE_PGM_RSRC2:USER_SGPR: 2
; COMPUTE_PGM_RSRC2:TRAP_HANDLER: 0
; COMPUTE_PGM_RSRC2:TGID_X_EN: 1
; COMPUTE_PGM_RSRC2:TGID_Y_EN: 0
; COMPUTE_PGM_RSRC2:TGID_Z_EN: 0
; COMPUTE_PGM_RSRC2:TIDIG_COMP_CNT: 0
	.section	.text._ZN7rocprim17ROCPRIM_400000_NS6detail17trampoline_kernelINS0_14default_configENS1_22reduce_config_selectorI11minmax_pairIiEEEZNS1_11reduce_implILb1ES3_PS6_S9_S6_16minmax_binary_opIiEEE10hipError_tPvRmT1_T2_T3_mT4_P12ihipStream_tbEUlT_E0_NS1_11comp_targetILNS1_3genE9ELNS1_11target_archE1100ELNS1_3gpuE3ELNS1_3repE0EEENS1_30default_config_static_selectorELNS0_4arch9wavefront6targetE0EEEvSF_,"axG",@progbits,_ZN7rocprim17ROCPRIM_400000_NS6detail17trampoline_kernelINS0_14default_configENS1_22reduce_config_selectorI11minmax_pairIiEEEZNS1_11reduce_implILb1ES3_PS6_S9_S6_16minmax_binary_opIiEEE10hipError_tPvRmT1_T2_T3_mT4_P12ihipStream_tbEUlT_E0_NS1_11comp_targetILNS1_3genE9ELNS1_11target_archE1100ELNS1_3gpuE3ELNS1_3repE0EEENS1_30default_config_static_selectorELNS0_4arch9wavefront6targetE0EEEvSF_,comdat
	.protected	_ZN7rocprim17ROCPRIM_400000_NS6detail17trampoline_kernelINS0_14default_configENS1_22reduce_config_selectorI11minmax_pairIiEEEZNS1_11reduce_implILb1ES3_PS6_S9_S6_16minmax_binary_opIiEEE10hipError_tPvRmT1_T2_T3_mT4_P12ihipStream_tbEUlT_E0_NS1_11comp_targetILNS1_3genE9ELNS1_11target_archE1100ELNS1_3gpuE3ELNS1_3repE0EEENS1_30default_config_static_selectorELNS0_4arch9wavefront6targetE0EEEvSF_ ; -- Begin function _ZN7rocprim17ROCPRIM_400000_NS6detail17trampoline_kernelINS0_14default_configENS1_22reduce_config_selectorI11minmax_pairIiEEEZNS1_11reduce_implILb1ES3_PS6_S9_S6_16minmax_binary_opIiEEE10hipError_tPvRmT1_T2_T3_mT4_P12ihipStream_tbEUlT_E0_NS1_11comp_targetILNS1_3genE9ELNS1_11target_archE1100ELNS1_3gpuE3ELNS1_3repE0EEENS1_30default_config_static_selectorELNS0_4arch9wavefront6targetE0EEEvSF_
	.globl	_ZN7rocprim17ROCPRIM_400000_NS6detail17trampoline_kernelINS0_14default_configENS1_22reduce_config_selectorI11minmax_pairIiEEEZNS1_11reduce_implILb1ES3_PS6_S9_S6_16minmax_binary_opIiEEE10hipError_tPvRmT1_T2_T3_mT4_P12ihipStream_tbEUlT_E0_NS1_11comp_targetILNS1_3genE9ELNS1_11target_archE1100ELNS1_3gpuE3ELNS1_3repE0EEENS1_30default_config_static_selectorELNS0_4arch9wavefront6targetE0EEEvSF_
	.p2align	8
	.type	_ZN7rocprim17ROCPRIM_400000_NS6detail17trampoline_kernelINS0_14default_configENS1_22reduce_config_selectorI11minmax_pairIiEEEZNS1_11reduce_implILb1ES3_PS6_S9_S6_16minmax_binary_opIiEEE10hipError_tPvRmT1_T2_T3_mT4_P12ihipStream_tbEUlT_E0_NS1_11comp_targetILNS1_3genE9ELNS1_11target_archE1100ELNS1_3gpuE3ELNS1_3repE0EEENS1_30default_config_static_selectorELNS0_4arch9wavefront6targetE0EEEvSF_,@function
_ZN7rocprim17ROCPRIM_400000_NS6detail17trampoline_kernelINS0_14default_configENS1_22reduce_config_selectorI11minmax_pairIiEEEZNS1_11reduce_implILb1ES3_PS6_S9_S6_16minmax_binary_opIiEEE10hipError_tPvRmT1_T2_T3_mT4_P12ihipStream_tbEUlT_E0_NS1_11comp_targetILNS1_3genE9ELNS1_11target_archE1100ELNS1_3gpuE3ELNS1_3repE0EEENS1_30default_config_static_selectorELNS0_4arch9wavefront6targetE0EEEvSF_: ; @_ZN7rocprim17ROCPRIM_400000_NS6detail17trampoline_kernelINS0_14default_configENS1_22reduce_config_selectorI11minmax_pairIiEEEZNS1_11reduce_implILb1ES3_PS6_S9_S6_16minmax_binary_opIiEEE10hipError_tPvRmT1_T2_T3_mT4_P12ihipStream_tbEUlT_E0_NS1_11comp_targetILNS1_3genE9ELNS1_11target_archE1100ELNS1_3gpuE3ELNS1_3repE0EEENS1_30default_config_static_selectorELNS0_4arch9wavefront6targetE0EEEvSF_
; %bb.0:
	.section	.rodata,"a",@progbits
	.p2align	6, 0x0
	.amdhsa_kernel _ZN7rocprim17ROCPRIM_400000_NS6detail17trampoline_kernelINS0_14default_configENS1_22reduce_config_selectorI11minmax_pairIiEEEZNS1_11reduce_implILb1ES3_PS6_S9_S6_16minmax_binary_opIiEEE10hipError_tPvRmT1_T2_T3_mT4_P12ihipStream_tbEUlT_E0_NS1_11comp_targetILNS1_3genE9ELNS1_11target_archE1100ELNS1_3gpuE3ELNS1_3repE0EEENS1_30default_config_static_selectorELNS0_4arch9wavefront6targetE0EEEvSF_
		.amdhsa_group_segment_fixed_size 0
		.amdhsa_private_segment_fixed_size 0
		.amdhsa_kernarg_size 64
		.amdhsa_user_sgpr_count 2
		.amdhsa_user_sgpr_dispatch_ptr 0
		.amdhsa_user_sgpr_queue_ptr 0
		.amdhsa_user_sgpr_kernarg_segment_ptr 1
		.amdhsa_user_sgpr_dispatch_id 0
		.amdhsa_user_sgpr_kernarg_preload_length 0
		.amdhsa_user_sgpr_kernarg_preload_offset 0
		.amdhsa_user_sgpr_private_segment_size 0
		.amdhsa_wavefront_size32 1
		.amdhsa_uses_dynamic_stack 0
		.amdhsa_enable_private_segment 0
		.amdhsa_system_sgpr_workgroup_id_x 1
		.amdhsa_system_sgpr_workgroup_id_y 0
		.amdhsa_system_sgpr_workgroup_id_z 0
		.amdhsa_system_sgpr_workgroup_info 0
		.amdhsa_system_vgpr_workitem_id 0
		.amdhsa_next_free_vgpr 1
		.amdhsa_next_free_sgpr 1
		.amdhsa_named_barrier_count 0
		.amdhsa_reserve_vcc 0
		.amdhsa_float_round_mode_32 0
		.amdhsa_float_round_mode_16_64 0
		.amdhsa_float_denorm_mode_32 3
		.amdhsa_float_denorm_mode_16_64 3
		.amdhsa_fp16_overflow 0
		.amdhsa_memory_ordered 1
		.amdhsa_forward_progress 1
		.amdhsa_inst_pref_size 0
		.amdhsa_round_robin_scheduling 0
		.amdhsa_exception_fp_ieee_invalid_op 0
		.amdhsa_exception_fp_denorm_src 0
		.amdhsa_exception_fp_ieee_div_zero 0
		.amdhsa_exception_fp_ieee_overflow 0
		.amdhsa_exception_fp_ieee_underflow 0
		.amdhsa_exception_fp_ieee_inexact 0
		.amdhsa_exception_int_div_zero 0
	.end_amdhsa_kernel
	.section	.text._ZN7rocprim17ROCPRIM_400000_NS6detail17trampoline_kernelINS0_14default_configENS1_22reduce_config_selectorI11minmax_pairIiEEEZNS1_11reduce_implILb1ES3_PS6_S9_S6_16minmax_binary_opIiEEE10hipError_tPvRmT1_T2_T3_mT4_P12ihipStream_tbEUlT_E0_NS1_11comp_targetILNS1_3genE9ELNS1_11target_archE1100ELNS1_3gpuE3ELNS1_3repE0EEENS1_30default_config_static_selectorELNS0_4arch9wavefront6targetE0EEEvSF_,"axG",@progbits,_ZN7rocprim17ROCPRIM_400000_NS6detail17trampoline_kernelINS0_14default_configENS1_22reduce_config_selectorI11minmax_pairIiEEEZNS1_11reduce_implILb1ES3_PS6_S9_S6_16minmax_binary_opIiEEE10hipError_tPvRmT1_T2_T3_mT4_P12ihipStream_tbEUlT_E0_NS1_11comp_targetILNS1_3genE9ELNS1_11target_archE1100ELNS1_3gpuE3ELNS1_3repE0EEENS1_30default_config_static_selectorELNS0_4arch9wavefront6targetE0EEEvSF_,comdat
.Lfunc_end8:
	.size	_ZN7rocprim17ROCPRIM_400000_NS6detail17trampoline_kernelINS0_14default_configENS1_22reduce_config_selectorI11minmax_pairIiEEEZNS1_11reduce_implILb1ES3_PS6_S9_S6_16minmax_binary_opIiEEE10hipError_tPvRmT1_T2_T3_mT4_P12ihipStream_tbEUlT_E0_NS1_11comp_targetILNS1_3genE9ELNS1_11target_archE1100ELNS1_3gpuE3ELNS1_3repE0EEENS1_30default_config_static_selectorELNS0_4arch9wavefront6targetE0EEEvSF_, .Lfunc_end8-_ZN7rocprim17ROCPRIM_400000_NS6detail17trampoline_kernelINS0_14default_configENS1_22reduce_config_selectorI11minmax_pairIiEEEZNS1_11reduce_implILb1ES3_PS6_S9_S6_16minmax_binary_opIiEEE10hipError_tPvRmT1_T2_T3_mT4_P12ihipStream_tbEUlT_E0_NS1_11comp_targetILNS1_3genE9ELNS1_11target_archE1100ELNS1_3gpuE3ELNS1_3repE0EEENS1_30default_config_static_selectorELNS0_4arch9wavefront6targetE0EEEvSF_
                                        ; -- End function
	.set _ZN7rocprim17ROCPRIM_400000_NS6detail17trampoline_kernelINS0_14default_configENS1_22reduce_config_selectorI11minmax_pairIiEEEZNS1_11reduce_implILb1ES3_PS6_S9_S6_16minmax_binary_opIiEEE10hipError_tPvRmT1_T2_T3_mT4_P12ihipStream_tbEUlT_E0_NS1_11comp_targetILNS1_3genE9ELNS1_11target_archE1100ELNS1_3gpuE3ELNS1_3repE0EEENS1_30default_config_static_selectorELNS0_4arch9wavefront6targetE0EEEvSF_.num_vgpr, 0
	.set _ZN7rocprim17ROCPRIM_400000_NS6detail17trampoline_kernelINS0_14default_configENS1_22reduce_config_selectorI11minmax_pairIiEEEZNS1_11reduce_implILb1ES3_PS6_S9_S6_16minmax_binary_opIiEEE10hipError_tPvRmT1_T2_T3_mT4_P12ihipStream_tbEUlT_E0_NS1_11comp_targetILNS1_3genE9ELNS1_11target_archE1100ELNS1_3gpuE3ELNS1_3repE0EEENS1_30default_config_static_selectorELNS0_4arch9wavefront6targetE0EEEvSF_.num_agpr, 0
	.set _ZN7rocprim17ROCPRIM_400000_NS6detail17trampoline_kernelINS0_14default_configENS1_22reduce_config_selectorI11minmax_pairIiEEEZNS1_11reduce_implILb1ES3_PS6_S9_S6_16minmax_binary_opIiEEE10hipError_tPvRmT1_T2_T3_mT4_P12ihipStream_tbEUlT_E0_NS1_11comp_targetILNS1_3genE9ELNS1_11target_archE1100ELNS1_3gpuE3ELNS1_3repE0EEENS1_30default_config_static_selectorELNS0_4arch9wavefront6targetE0EEEvSF_.numbered_sgpr, 0
	.set _ZN7rocprim17ROCPRIM_400000_NS6detail17trampoline_kernelINS0_14default_configENS1_22reduce_config_selectorI11minmax_pairIiEEEZNS1_11reduce_implILb1ES3_PS6_S9_S6_16minmax_binary_opIiEEE10hipError_tPvRmT1_T2_T3_mT4_P12ihipStream_tbEUlT_E0_NS1_11comp_targetILNS1_3genE9ELNS1_11target_archE1100ELNS1_3gpuE3ELNS1_3repE0EEENS1_30default_config_static_selectorELNS0_4arch9wavefront6targetE0EEEvSF_.num_named_barrier, 0
	.set _ZN7rocprim17ROCPRIM_400000_NS6detail17trampoline_kernelINS0_14default_configENS1_22reduce_config_selectorI11minmax_pairIiEEEZNS1_11reduce_implILb1ES3_PS6_S9_S6_16minmax_binary_opIiEEE10hipError_tPvRmT1_T2_T3_mT4_P12ihipStream_tbEUlT_E0_NS1_11comp_targetILNS1_3genE9ELNS1_11target_archE1100ELNS1_3gpuE3ELNS1_3repE0EEENS1_30default_config_static_selectorELNS0_4arch9wavefront6targetE0EEEvSF_.private_seg_size, 0
	.set _ZN7rocprim17ROCPRIM_400000_NS6detail17trampoline_kernelINS0_14default_configENS1_22reduce_config_selectorI11minmax_pairIiEEEZNS1_11reduce_implILb1ES3_PS6_S9_S6_16minmax_binary_opIiEEE10hipError_tPvRmT1_T2_T3_mT4_P12ihipStream_tbEUlT_E0_NS1_11comp_targetILNS1_3genE9ELNS1_11target_archE1100ELNS1_3gpuE3ELNS1_3repE0EEENS1_30default_config_static_selectorELNS0_4arch9wavefront6targetE0EEEvSF_.uses_vcc, 0
	.set _ZN7rocprim17ROCPRIM_400000_NS6detail17trampoline_kernelINS0_14default_configENS1_22reduce_config_selectorI11minmax_pairIiEEEZNS1_11reduce_implILb1ES3_PS6_S9_S6_16minmax_binary_opIiEEE10hipError_tPvRmT1_T2_T3_mT4_P12ihipStream_tbEUlT_E0_NS1_11comp_targetILNS1_3genE9ELNS1_11target_archE1100ELNS1_3gpuE3ELNS1_3repE0EEENS1_30default_config_static_selectorELNS0_4arch9wavefront6targetE0EEEvSF_.uses_flat_scratch, 0
	.set _ZN7rocprim17ROCPRIM_400000_NS6detail17trampoline_kernelINS0_14default_configENS1_22reduce_config_selectorI11minmax_pairIiEEEZNS1_11reduce_implILb1ES3_PS6_S9_S6_16minmax_binary_opIiEEE10hipError_tPvRmT1_T2_T3_mT4_P12ihipStream_tbEUlT_E0_NS1_11comp_targetILNS1_3genE9ELNS1_11target_archE1100ELNS1_3gpuE3ELNS1_3repE0EEENS1_30default_config_static_selectorELNS0_4arch9wavefront6targetE0EEEvSF_.has_dyn_sized_stack, 0
	.set _ZN7rocprim17ROCPRIM_400000_NS6detail17trampoline_kernelINS0_14default_configENS1_22reduce_config_selectorI11minmax_pairIiEEEZNS1_11reduce_implILb1ES3_PS6_S9_S6_16minmax_binary_opIiEEE10hipError_tPvRmT1_T2_T3_mT4_P12ihipStream_tbEUlT_E0_NS1_11comp_targetILNS1_3genE9ELNS1_11target_archE1100ELNS1_3gpuE3ELNS1_3repE0EEENS1_30default_config_static_selectorELNS0_4arch9wavefront6targetE0EEEvSF_.has_recursion, 0
	.set _ZN7rocprim17ROCPRIM_400000_NS6detail17trampoline_kernelINS0_14default_configENS1_22reduce_config_selectorI11minmax_pairIiEEEZNS1_11reduce_implILb1ES3_PS6_S9_S6_16minmax_binary_opIiEEE10hipError_tPvRmT1_T2_T3_mT4_P12ihipStream_tbEUlT_E0_NS1_11comp_targetILNS1_3genE9ELNS1_11target_archE1100ELNS1_3gpuE3ELNS1_3repE0EEENS1_30default_config_static_selectorELNS0_4arch9wavefront6targetE0EEEvSF_.has_indirect_call, 0
	.section	.AMDGPU.csdata,"",@progbits
; Kernel info:
; codeLenInByte = 0
; TotalNumSgprs: 0
; NumVgprs: 0
; ScratchSize: 0
; MemoryBound: 0
; FloatMode: 240
; IeeeMode: 1
; LDSByteSize: 0 bytes/workgroup (compile time only)
; SGPRBlocks: 0
; VGPRBlocks: 0
; NumSGPRsForWavesPerEU: 1
; NumVGPRsForWavesPerEU: 1
; NamedBarCnt: 0
; Occupancy: 16
; WaveLimiterHint : 0
; COMPUTE_PGM_RSRC2:SCRATCH_EN: 0
; COMPUTE_PGM_RSRC2:USER_SGPR: 2
; COMPUTE_PGM_RSRC2:TRAP_HANDLER: 0
; COMPUTE_PGM_RSRC2:TGID_X_EN: 1
; COMPUTE_PGM_RSRC2:TGID_Y_EN: 0
; COMPUTE_PGM_RSRC2:TGID_Z_EN: 0
; COMPUTE_PGM_RSRC2:TIDIG_COMP_CNT: 0
	.section	.text._ZN7rocprim17ROCPRIM_400000_NS6detail17trampoline_kernelINS0_14default_configENS1_22reduce_config_selectorI11minmax_pairIiEEEZNS1_11reduce_implILb1ES3_PS6_S9_S6_16minmax_binary_opIiEEE10hipError_tPvRmT1_T2_T3_mT4_P12ihipStream_tbEUlT_E0_NS1_11comp_targetILNS1_3genE8ELNS1_11target_archE1030ELNS1_3gpuE2ELNS1_3repE0EEENS1_30default_config_static_selectorELNS0_4arch9wavefront6targetE0EEEvSF_,"axG",@progbits,_ZN7rocprim17ROCPRIM_400000_NS6detail17trampoline_kernelINS0_14default_configENS1_22reduce_config_selectorI11minmax_pairIiEEEZNS1_11reduce_implILb1ES3_PS6_S9_S6_16minmax_binary_opIiEEE10hipError_tPvRmT1_T2_T3_mT4_P12ihipStream_tbEUlT_E0_NS1_11comp_targetILNS1_3genE8ELNS1_11target_archE1030ELNS1_3gpuE2ELNS1_3repE0EEENS1_30default_config_static_selectorELNS0_4arch9wavefront6targetE0EEEvSF_,comdat
	.protected	_ZN7rocprim17ROCPRIM_400000_NS6detail17trampoline_kernelINS0_14default_configENS1_22reduce_config_selectorI11minmax_pairIiEEEZNS1_11reduce_implILb1ES3_PS6_S9_S6_16minmax_binary_opIiEEE10hipError_tPvRmT1_T2_T3_mT4_P12ihipStream_tbEUlT_E0_NS1_11comp_targetILNS1_3genE8ELNS1_11target_archE1030ELNS1_3gpuE2ELNS1_3repE0EEENS1_30default_config_static_selectorELNS0_4arch9wavefront6targetE0EEEvSF_ ; -- Begin function _ZN7rocprim17ROCPRIM_400000_NS6detail17trampoline_kernelINS0_14default_configENS1_22reduce_config_selectorI11minmax_pairIiEEEZNS1_11reduce_implILb1ES3_PS6_S9_S6_16minmax_binary_opIiEEE10hipError_tPvRmT1_T2_T3_mT4_P12ihipStream_tbEUlT_E0_NS1_11comp_targetILNS1_3genE8ELNS1_11target_archE1030ELNS1_3gpuE2ELNS1_3repE0EEENS1_30default_config_static_selectorELNS0_4arch9wavefront6targetE0EEEvSF_
	.globl	_ZN7rocprim17ROCPRIM_400000_NS6detail17trampoline_kernelINS0_14default_configENS1_22reduce_config_selectorI11minmax_pairIiEEEZNS1_11reduce_implILb1ES3_PS6_S9_S6_16minmax_binary_opIiEEE10hipError_tPvRmT1_T2_T3_mT4_P12ihipStream_tbEUlT_E0_NS1_11comp_targetILNS1_3genE8ELNS1_11target_archE1030ELNS1_3gpuE2ELNS1_3repE0EEENS1_30default_config_static_selectorELNS0_4arch9wavefront6targetE0EEEvSF_
	.p2align	8
	.type	_ZN7rocprim17ROCPRIM_400000_NS6detail17trampoline_kernelINS0_14default_configENS1_22reduce_config_selectorI11minmax_pairIiEEEZNS1_11reduce_implILb1ES3_PS6_S9_S6_16minmax_binary_opIiEEE10hipError_tPvRmT1_T2_T3_mT4_P12ihipStream_tbEUlT_E0_NS1_11comp_targetILNS1_3genE8ELNS1_11target_archE1030ELNS1_3gpuE2ELNS1_3repE0EEENS1_30default_config_static_selectorELNS0_4arch9wavefront6targetE0EEEvSF_,@function
_ZN7rocprim17ROCPRIM_400000_NS6detail17trampoline_kernelINS0_14default_configENS1_22reduce_config_selectorI11minmax_pairIiEEEZNS1_11reduce_implILb1ES3_PS6_S9_S6_16minmax_binary_opIiEEE10hipError_tPvRmT1_T2_T3_mT4_P12ihipStream_tbEUlT_E0_NS1_11comp_targetILNS1_3genE8ELNS1_11target_archE1030ELNS1_3gpuE2ELNS1_3repE0EEENS1_30default_config_static_selectorELNS0_4arch9wavefront6targetE0EEEvSF_: ; @_ZN7rocprim17ROCPRIM_400000_NS6detail17trampoline_kernelINS0_14default_configENS1_22reduce_config_selectorI11minmax_pairIiEEEZNS1_11reduce_implILb1ES3_PS6_S9_S6_16minmax_binary_opIiEEE10hipError_tPvRmT1_T2_T3_mT4_P12ihipStream_tbEUlT_E0_NS1_11comp_targetILNS1_3genE8ELNS1_11target_archE1030ELNS1_3gpuE2ELNS1_3repE0EEENS1_30default_config_static_selectorELNS0_4arch9wavefront6targetE0EEEvSF_
; %bb.0:
	.section	.rodata,"a",@progbits
	.p2align	6, 0x0
	.amdhsa_kernel _ZN7rocprim17ROCPRIM_400000_NS6detail17trampoline_kernelINS0_14default_configENS1_22reduce_config_selectorI11minmax_pairIiEEEZNS1_11reduce_implILb1ES3_PS6_S9_S6_16minmax_binary_opIiEEE10hipError_tPvRmT1_T2_T3_mT4_P12ihipStream_tbEUlT_E0_NS1_11comp_targetILNS1_3genE8ELNS1_11target_archE1030ELNS1_3gpuE2ELNS1_3repE0EEENS1_30default_config_static_selectorELNS0_4arch9wavefront6targetE0EEEvSF_
		.amdhsa_group_segment_fixed_size 0
		.amdhsa_private_segment_fixed_size 0
		.amdhsa_kernarg_size 64
		.amdhsa_user_sgpr_count 2
		.amdhsa_user_sgpr_dispatch_ptr 0
		.amdhsa_user_sgpr_queue_ptr 0
		.amdhsa_user_sgpr_kernarg_segment_ptr 1
		.amdhsa_user_sgpr_dispatch_id 0
		.amdhsa_user_sgpr_kernarg_preload_length 0
		.amdhsa_user_sgpr_kernarg_preload_offset 0
		.amdhsa_user_sgpr_private_segment_size 0
		.amdhsa_wavefront_size32 1
		.amdhsa_uses_dynamic_stack 0
		.amdhsa_enable_private_segment 0
		.amdhsa_system_sgpr_workgroup_id_x 1
		.amdhsa_system_sgpr_workgroup_id_y 0
		.amdhsa_system_sgpr_workgroup_id_z 0
		.amdhsa_system_sgpr_workgroup_info 0
		.amdhsa_system_vgpr_workitem_id 0
		.amdhsa_next_free_vgpr 1
		.amdhsa_next_free_sgpr 1
		.amdhsa_named_barrier_count 0
		.amdhsa_reserve_vcc 0
		.amdhsa_float_round_mode_32 0
		.amdhsa_float_round_mode_16_64 0
		.amdhsa_float_denorm_mode_32 3
		.amdhsa_float_denorm_mode_16_64 3
		.amdhsa_fp16_overflow 0
		.amdhsa_memory_ordered 1
		.amdhsa_forward_progress 1
		.amdhsa_inst_pref_size 0
		.amdhsa_round_robin_scheduling 0
		.amdhsa_exception_fp_ieee_invalid_op 0
		.amdhsa_exception_fp_denorm_src 0
		.amdhsa_exception_fp_ieee_div_zero 0
		.amdhsa_exception_fp_ieee_overflow 0
		.amdhsa_exception_fp_ieee_underflow 0
		.amdhsa_exception_fp_ieee_inexact 0
		.amdhsa_exception_int_div_zero 0
	.end_amdhsa_kernel
	.section	.text._ZN7rocprim17ROCPRIM_400000_NS6detail17trampoline_kernelINS0_14default_configENS1_22reduce_config_selectorI11minmax_pairIiEEEZNS1_11reduce_implILb1ES3_PS6_S9_S6_16minmax_binary_opIiEEE10hipError_tPvRmT1_T2_T3_mT4_P12ihipStream_tbEUlT_E0_NS1_11comp_targetILNS1_3genE8ELNS1_11target_archE1030ELNS1_3gpuE2ELNS1_3repE0EEENS1_30default_config_static_selectorELNS0_4arch9wavefront6targetE0EEEvSF_,"axG",@progbits,_ZN7rocprim17ROCPRIM_400000_NS6detail17trampoline_kernelINS0_14default_configENS1_22reduce_config_selectorI11minmax_pairIiEEEZNS1_11reduce_implILb1ES3_PS6_S9_S6_16minmax_binary_opIiEEE10hipError_tPvRmT1_T2_T3_mT4_P12ihipStream_tbEUlT_E0_NS1_11comp_targetILNS1_3genE8ELNS1_11target_archE1030ELNS1_3gpuE2ELNS1_3repE0EEENS1_30default_config_static_selectorELNS0_4arch9wavefront6targetE0EEEvSF_,comdat
.Lfunc_end9:
	.size	_ZN7rocprim17ROCPRIM_400000_NS6detail17trampoline_kernelINS0_14default_configENS1_22reduce_config_selectorI11minmax_pairIiEEEZNS1_11reduce_implILb1ES3_PS6_S9_S6_16minmax_binary_opIiEEE10hipError_tPvRmT1_T2_T3_mT4_P12ihipStream_tbEUlT_E0_NS1_11comp_targetILNS1_3genE8ELNS1_11target_archE1030ELNS1_3gpuE2ELNS1_3repE0EEENS1_30default_config_static_selectorELNS0_4arch9wavefront6targetE0EEEvSF_, .Lfunc_end9-_ZN7rocprim17ROCPRIM_400000_NS6detail17trampoline_kernelINS0_14default_configENS1_22reduce_config_selectorI11minmax_pairIiEEEZNS1_11reduce_implILb1ES3_PS6_S9_S6_16minmax_binary_opIiEEE10hipError_tPvRmT1_T2_T3_mT4_P12ihipStream_tbEUlT_E0_NS1_11comp_targetILNS1_3genE8ELNS1_11target_archE1030ELNS1_3gpuE2ELNS1_3repE0EEENS1_30default_config_static_selectorELNS0_4arch9wavefront6targetE0EEEvSF_
                                        ; -- End function
	.set _ZN7rocprim17ROCPRIM_400000_NS6detail17trampoline_kernelINS0_14default_configENS1_22reduce_config_selectorI11minmax_pairIiEEEZNS1_11reduce_implILb1ES3_PS6_S9_S6_16minmax_binary_opIiEEE10hipError_tPvRmT1_T2_T3_mT4_P12ihipStream_tbEUlT_E0_NS1_11comp_targetILNS1_3genE8ELNS1_11target_archE1030ELNS1_3gpuE2ELNS1_3repE0EEENS1_30default_config_static_selectorELNS0_4arch9wavefront6targetE0EEEvSF_.num_vgpr, 0
	.set _ZN7rocprim17ROCPRIM_400000_NS6detail17trampoline_kernelINS0_14default_configENS1_22reduce_config_selectorI11minmax_pairIiEEEZNS1_11reduce_implILb1ES3_PS6_S9_S6_16minmax_binary_opIiEEE10hipError_tPvRmT1_T2_T3_mT4_P12ihipStream_tbEUlT_E0_NS1_11comp_targetILNS1_3genE8ELNS1_11target_archE1030ELNS1_3gpuE2ELNS1_3repE0EEENS1_30default_config_static_selectorELNS0_4arch9wavefront6targetE0EEEvSF_.num_agpr, 0
	.set _ZN7rocprim17ROCPRIM_400000_NS6detail17trampoline_kernelINS0_14default_configENS1_22reduce_config_selectorI11minmax_pairIiEEEZNS1_11reduce_implILb1ES3_PS6_S9_S6_16minmax_binary_opIiEEE10hipError_tPvRmT1_T2_T3_mT4_P12ihipStream_tbEUlT_E0_NS1_11comp_targetILNS1_3genE8ELNS1_11target_archE1030ELNS1_3gpuE2ELNS1_3repE0EEENS1_30default_config_static_selectorELNS0_4arch9wavefront6targetE0EEEvSF_.numbered_sgpr, 0
	.set _ZN7rocprim17ROCPRIM_400000_NS6detail17trampoline_kernelINS0_14default_configENS1_22reduce_config_selectorI11minmax_pairIiEEEZNS1_11reduce_implILb1ES3_PS6_S9_S6_16minmax_binary_opIiEEE10hipError_tPvRmT1_T2_T3_mT4_P12ihipStream_tbEUlT_E0_NS1_11comp_targetILNS1_3genE8ELNS1_11target_archE1030ELNS1_3gpuE2ELNS1_3repE0EEENS1_30default_config_static_selectorELNS0_4arch9wavefront6targetE0EEEvSF_.num_named_barrier, 0
	.set _ZN7rocprim17ROCPRIM_400000_NS6detail17trampoline_kernelINS0_14default_configENS1_22reduce_config_selectorI11minmax_pairIiEEEZNS1_11reduce_implILb1ES3_PS6_S9_S6_16minmax_binary_opIiEEE10hipError_tPvRmT1_T2_T3_mT4_P12ihipStream_tbEUlT_E0_NS1_11comp_targetILNS1_3genE8ELNS1_11target_archE1030ELNS1_3gpuE2ELNS1_3repE0EEENS1_30default_config_static_selectorELNS0_4arch9wavefront6targetE0EEEvSF_.private_seg_size, 0
	.set _ZN7rocprim17ROCPRIM_400000_NS6detail17trampoline_kernelINS0_14default_configENS1_22reduce_config_selectorI11minmax_pairIiEEEZNS1_11reduce_implILb1ES3_PS6_S9_S6_16minmax_binary_opIiEEE10hipError_tPvRmT1_T2_T3_mT4_P12ihipStream_tbEUlT_E0_NS1_11comp_targetILNS1_3genE8ELNS1_11target_archE1030ELNS1_3gpuE2ELNS1_3repE0EEENS1_30default_config_static_selectorELNS0_4arch9wavefront6targetE0EEEvSF_.uses_vcc, 0
	.set _ZN7rocprim17ROCPRIM_400000_NS6detail17trampoline_kernelINS0_14default_configENS1_22reduce_config_selectorI11minmax_pairIiEEEZNS1_11reduce_implILb1ES3_PS6_S9_S6_16minmax_binary_opIiEEE10hipError_tPvRmT1_T2_T3_mT4_P12ihipStream_tbEUlT_E0_NS1_11comp_targetILNS1_3genE8ELNS1_11target_archE1030ELNS1_3gpuE2ELNS1_3repE0EEENS1_30default_config_static_selectorELNS0_4arch9wavefront6targetE0EEEvSF_.uses_flat_scratch, 0
	.set _ZN7rocprim17ROCPRIM_400000_NS6detail17trampoline_kernelINS0_14default_configENS1_22reduce_config_selectorI11minmax_pairIiEEEZNS1_11reduce_implILb1ES3_PS6_S9_S6_16minmax_binary_opIiEEE10hipError_tPvRmT1_T2_T3_mT4_P12ihipStream_tbEUlT_E0_NS1_11comp_targetILNS1_3genE8ELNS1_11target_archE1030ELNS1_3gpuE2ELNS1_3repE0EEENS1_30default_config_static_selectorELNS0_4arch9wavefront6targetE0EEEvSF_.has_dyn_sized_stack, 0
	.set _ZN7rocprim17ROCPRIM_400000_NS6detail17trampoline_kernelINS0_14default_configENS1_22reduce_config_selectorI11minmax_pairIiEEEZNS1_11reduce_implILb1ES3_PS6_S9_S6_16minmax_binary_opIiEEE10hipError_tPvRmT1_T2_T3_mT4_P12ihipStream_tbEUlT_E0_NS1_11comp_targetILNS1_3genE8ELNS1_11target_archE1030ELNS1_3gpuE2ELNS1_3repE0EEENS1_30default_config_static_selectorELNS0_4arch9wavefront6targetE0EEEvSF_.has_recursion, 0
	.set _ZN7rocprim17ROCPRIM_400000_NS6detail17trampoline_kernelINS0_14default_configENS1_22reduce_config_selectorI11minmax_pairIiEEEZNS1_11reduce_implILb1ES3_PS6_S9_S6_16minmax_binary_opIiEEE10hipError_tPvRmT1_T2_T3_mT4_P12ihipStream_tbEUlT_E0_NS1_11comp_targetILNS1_3genE8ELNS1_11target_archE1030ELNS1_3gpuE2ELNS1_3repE0EEENS1_30default_config_static_selectorELNS0_4arch9wavefront6targetE0EEEvSF_.has_indirect_call, 0
	.section	.AMDGPU.csdata,"",@progbits
; Kernel info:
; codeLenInByte = 0
; TotalNumSgprs: 0
; NumVgprs: 0
; ScratchSize: 0
; MemoryBound: 0
; FloatMode: 240
; IeeeMode: 1
; LDSByteSize: 0 bytes/workgroup (compile time only)
; SGPRBlocks: 0
; VGPRBlocks: 0
; NumSGPRsForWavesPerEU: 1
; NumVGPRsForWavesPerEU: 1
; NamedBarCnt: 0
; Occupancy: 16
; WaveLimiterHint : 0
; COMPUTE_PGM_RSRC2:SCRATCH_EN: 0
; COMPUTE_PGM_RSRC2:USER_SGPR: 2
; COMPUTE_PGM_RSRC2:TRAP_HANDLER: 0
; COMPUTE_PGM_RSRC2:TGID_X_EN: 1
; COMPUTE_PGM_RSRC2:TGID_Y_EN: 0
; COMPUTE_PGM_RSRC2:TGID_Z_EN: 0
; COMPUTE_PGM_RSRC2:TIDIG_COMP_CNT: 0
	.section	.text._ZN7rocprim17ROCPRIM_400000_NS6detail17trampoline_kernelINS0_14default_configENS1_22reduce_config_selectorI11minmax_pairIiEEEZNS1_11reduce_implILb1ES3_PS6_S9_S6_16minmax_binary_opIiEEE10hipError_tPvRmT1_T2_T3_mT4_P12ihipStream_tbEUlT_E1_NS1_11comp_targetILNS1_3genE0ELNS1_11target_archE4294967295ELNS1_3gpuE0ELNS1_3repE0EEENS1_30default_config_static_selectorELNS0_4arch9wavefront6targetE0EEEvSF_,"axG",@progbits,_ZN7rocprim17ROCPRIM_400000_NS6detail17trampoline_kernelINS0_14default_configENS1_22reduce_config_selectorI11minmax_pairIiEEEZNS1_11reduce_implILb1ES3_PS6_S9_S6_16minmax_binary_opIiEEE10hipError_tPvRmT1_T2_T3_mT4_P12ihipStream_tbEUlT_E1_NS1_11comp_targetILNS1_3genE0ELNS1_11target_archE4294967295ELNS1_3gpuE0ELNS1_3repE0EEENS1_30default_config_static_selectorELNS0_4arch9wavefront6targetE0EEEvSF_,comdat
	.protected	_ZN7rocprim17ROCPRIM_400000_NS6detail17trampoline_kernelINS0_14default_configENS1_22reduce_config_selectorI11minmax_pairIiEEEZNS1_11reduce_implILb1ES3_PS6_S9_S6_16minmax_binary_opIiEEE10hipError_tPvRmT1_T2_T3_mT4_P12ihipStream_tbEUlT_E1_NS1_11comp_targetILNS1_3genE0ELNS1_11target_archE4294967295ELNS1_3gpuE0ELNS1_3repE0EEENS1_30default_config_static_selectorELNS0_4arch9wavefront6targetE0EEEvSF_ ; -- Begin function _ZN7rocprim17ROCPRIM_400000_NS6detail17trampoline_kernelINS0_14default_configENS1_22reduce_config_selectorI11minmax_pairIiEEEZNS1_11reduce_implILb1ES3_PS6_S9_S6_16minmax_binary_opIiEEE10hipError_tPvRmT1_T2_T3_mT4_P12ihipStream_tbEUlT_E1_NS1_11comp_targetILNS1_3genE0ELNS1_11target_archE4294967295ELNS1_3gpuE0ELNS1_3repE0EEENS1_30default_config_static_selectorELNS0_4arch9wavefront6targetE0EEEvSF_
	.globl	_ZN7rocprim17ROCPRIM_400000_NS6detail17trampoline_kernelINS0_14default_configENS1_22reduce_config_selectorI11minmax_pairIiEEEZNS1_11reduce_implILb1ES3_PS6_S9_S6_16minmax_binary_opIiEEE10hipError_tPvRmT1_T2_T3_mT4_P12ihipStream_tbEUlT_E1_NS1_11comp_targetILNS1_3genE0ELNS1_11target_archE4294967295ELNS1_3gpuE0ELNS1_3repE0EEENS1_30default_config_static_selectorELNS0_4arch9wavefront6targetE0EEEvSF_
	.p2align	8
	.type	_ZN7rocprim17ROCPRIM_400000_NS6detail17trampoline_kernelINS0_14default_configENS1_22reduce_config_selectorI11minmax_pairIiEEEZNS1_11reduce_implILb1ES3_PS6_S9_S6_16minmax_binary_opIiEEE10hipError_tPvRmT1_T2_T3_mT4_P12ihipStream_tbEUlT_E1_NS1_11comp_targetILNS1_3genE0ELNS1_11target_archE4294967295ELNS1_3gpuE0ELNS1_3repE0EEENS1_30default_config_static_selectorELNS0_4arch9wavefront6targetE0EEEvSF_,@function
_ZN7rocprim17ROCPRIM_400000_NS6detail17trampoline_kernelINS0_14default_configENS1_22reduce_config_selectorI11minmax_pairIiEEEZNS1_11reduce_implILb1ES3_PS6_S9_S6_16minmax_binary_opIiEEE10hipError_tPvRmT1_T2_T3_mT4_P12ihipStream_tbEUlT_E1_NS1_11comp_targetILNS1_3genE0ELNS1_11target_archE4294967295ELNS1_3gpuE0ELNS1_3repE0EEENS1_30default_config_static_selectorELNS0_4arch9wavefront6targetE0EEEvSF_: ; @_ZN7rocprim17ROCPRIM_400000_NS6detail17trampoline_kernelINS0_14default_configENS1_22reduce_config_selectorI11minmax_pairIiEEEZNS1_11reduce_implILb1ES3_PS6_S9_S6_16minmax_binary_opIiEEE10hipError_tPvRmT1_T2_T3_mT4_P12ihipStream_tbEUlT_E1_NS1_11comp_targetILNS1_3genE0ELNS1_11target_archE4294967295ELNS1_3gpuE0ELNS1_3repE0EEENS1_30default_config_static_selectorELNS0_4arch9wavefront6targetE0EEEvSF_
; %bb.0:
	s_clause 0x1
	s_load_b32 s24, s[0:1], 0x4
	s_load_b128 s[16:19], s[0:1], 0x8
	s_wait_kmcnt 0x0
	s_cmp_lt_i32 s24, 4
	s_cbranch_scc1 .LBB10_11
; %bb.1:
	s_cmp_gt_i32 s24, 7
	s_cbranch_scc0 .LBB10_12
; %bb.2:
	s_cmp_gt_i32 s24, 15
	s_cbranch_scc0 .LBB10_13
; %bb.3:
	s_cmp_eq_u32 s24, 16
	s_mov_b32 s25, 0
	s_cbranch_scc0 .LBB10_14
; %bb.4:
	s_bfe_u32 s2, ttmp6, 0x4000c
	s_and_b32 s3, ttmp6, 15
	s_add_co_i32 s2, s2, 1
	s_getreg_b32 s4, hwreg(HW_REG_IB_STS2, 6, 4)
	s_mul_i32 s2, ttmp9, s2
	s_mov_b32 s21, 0
	s_add_co_i32 s3, s3, s2
	s_cmp_eq_u32 s4, 0
	s_cselect_b32 s20, ttmp9, s3
	s_mov_b32 s3, s21
	s_lshl_b32 s2, s20, 12
	s_lshr_b64 s[4:5], s[18:19], 12
	s_lshl_b64 s[6:7], s[2:3], 3
	s_cmp_lg_u64 s[4:5], s[20:21]
	s_add_nc_u64 s[22:23], s[16:17], s[6:7]
	s_cbranch_scc0 .LBB10_23
; %bb.5:
	s_clause 0xf
	global_load_b64 v[2:3], v0, s[22:23] scale_offset
	global_load_b64 v[4:5], v0, s[22:23] offset:2048 scale_offset
	global_load_b64 v[6:7], v0, s[22:23] offset:4096 scale_offset
	;; [unrolled: 1-line block ×15, first 2 shown]
	s_mov_b32 s3, exec_lo
	s_wait_loadcnt 0xe
	v_min_i32_e32 v1, v4, v2
	v_dual_mov_b32 v5, 0 :: v_dual_max_i32 v2, v3, v5
	s_wait_loadcnt 0xc
	s_delay_alu instid0(VALU_DEP_2) | instskip(NEXT) | instid1(VALU_DEP_2)
	v_min3_i32 v1, v8, v6, v1
	v_max3_i32 v2, v2, v7, v9
	s_wait_loadcnt 0xa
	s_delay_alu instid0(VALU_DEP_2) | instskip(NEXT) | instid1(VALU_DEP_2)
	v_min3_i32 v1, v12, v10, v1
	v_max3_i32 v2, v2, v11, v13
	;; [unrolled: 4-line block ×7, first 2 shown]
	s_delay_alu instid0(VALU_DEP_2) | instskip(NEXT) | instid1(VALU_DEP_2)
	v_mov_b32_dpp v3, v1 quad_perm:[1,0,3,2] row_mask:0xf bank_mask:0xf
	v_mov_b32_dpp v4, v2 quad_perm:[1,0,3,2] row_mask:0xf bank_mask:0xf
	s_delay_alu instid0(VALU_DEP_2) | instskip(NEXT) | instid1(VALU_DEP_2)
	v_min_i32_e32 v1, v1, v3
	v_max_i32_e32 v2, v4, v2
	s_delay_alu instid0(VALU_DEP_2) | instskip(NEXT) | instid1(VALU_DEP_2)
	v_mov_b32_dpp v3, v1 quad_perm:[2,3,0,1] row_mask:0xf bank_mask:0xf
	v_mov_b32_dpp v4, v2 quad_perm:[2,3,0,1] row_mask:0xf bank_mask:0xf
	s_delay_alu instid0(VALU_DEP_2) | instskip(NEXT) | instid1(VALU_DEP_2)
	v_min_i32_e32 v1, v1, v3
	v_max_i32_e32 v2, v4, v2
	s_delay_alu instid0(VALU_DEP_2) | instskip(NEXT) | instid1(VALU_DEP_2)
	v_mov_b32_dpp v3, v1 row_ror:4 row_mask:0xf bank_mask:0xf
	v_mov_b32_dpp v4, v2 row_ror:4 row_mask:0xf bank_mask:0xf
	s_delay_alu instid0(VALU_DEP_2) | instskip(NEXT) | instid1(VALU_DEP_2)
	v_min_i32_e32 v1, v1, v3
	v_max_i32_e32 v2, v4, v2
	s_delay_alu instid0(VALU_DEP_2) | instskip(NEXT) | instid1(VALU_DEP_2)
	v_mov_b32_dpp v3, v1 row_ror:8 row_mask:0xf bank_mask:0xf
	v_mov_b32_dpp v4, v2 row_ror:8 row_mask:0xf bank_mask:0xf
	s_delay_alu instid0(VALU_DEP_2) | instskip(NEXT) | instid1(VALU_DEP_2)
	v_min_i32_e32 v1, v1, v3
	v_max_i32_e32 v2, v4, v2
	ds_swizzle_b32 v3, v1 offset:swizzle(BROADCAST,32,15)
	ds_swizzle_b32 v4, v2 offset:swizzle(BROADCAST,32,15)
	s_wait_dscnt 0x1
	v_min_i32_e32 v1, v1, v3
	s_wait_dscnt 0x0
	v_max_i32_e32 v3, v4, v2
	ds_bpermute_b32 v2, v5, v1 offset:124
	ds_bpermute_b32 v3, v5, v3 offset:124
	v_mbcnt_lo_u32_b32 v1, -1, 0
	s_delay_alu instid0(VALU_DEP_1)
	v_cmpx_eq_u32_e32 0, v1
	s_cbranch_execz .LBB10_7
; %bb.6:
	v_lshrrev_b32_e32 v4, 2, v0
	s_delay_alu instid0(VALU_DEP_1)
	v_and_b32_e32 v4, 56, v4
	s_wait_dscnt 0x0
	ds_store_b64 v4, v[2:3] offset:64
.LBB10_7:
	s_or_b32 exec_lo, exec_lo, s3
	s_delay_alu instid0(SALU_CYCLE_1)
	s_mov_b32 s3, exec_lo
	s_wait_dscnt 0x0
	s_barrier_signal -1
	s_barrier_wait -1
	v_cmpx_gt_u32_e32 32, v0
	s_cbranch_execz .LBB10_9
; %bb.8:
	v_and_b32_e32 v4, 7, v1
	s_delay_alu instid0(VALU_DEP_1) | instskip(SKIP_3) | instid1(VALU_DEP_3)
	v_cmp_ne_u32_e32 vcc_lo, 7, v4
	v_add_co_ci_u32_e64 v5, null, 0, v1, vcc_lo
	v_lshlrev_b32_e32 v2, 3, v4
	v_cmp_gt_u32_e32 vcc_lo, 6, v4
	v_lshlrev_b32_e32 v5, 2, v5
	ds_load_b64 v[2:3], v2 offset:64
	v_cndmask_b32_e64 v4, 0, 2, vcc_lo
	s_delay_alu instid0(VALU_DEP_1) | instskip(SKIP_1) | instid1(VALU_DEP_1)
	v_add_lshl_u32 v4, v4, v1, 2
	v_lshlrev_b32_e32 v1, 2, v1
	v_or_b32_e32 v1, 16, v1
	s_wait_dscnt 0x0
	ds_bpermute_b32 v6, v5, v2
	ds_bpermute_b32 v5, v5, v3
	s_wait_dscnt 0x1
	v_min_i32_e32 v2, v6, v2
	s_wait_dscnt 0x0
	v_max_i32_e32 v3, v3, v5
	ds_bpermute_b32 v5, v4, v2
	ds_bpermute_b32 v4, v4, v3
	s_wait_dscnt 0x1
	v_min_i32_e32 v2, v5, v2
	s_wait_dscnt 0x0
	v_max_i32_e32 v3, v3, v4
	;; [unrolled: 6-line block ×3, first 2 shown]
.LBB10_9:
	s_or_b32 exec_lo, exec_lo, s3
.LBB10_10:
	v_cmp_eq_u32_e64 s2, 0, v0
	s_and_b32 vcc_lo, exec_lo, s25
	s_cbranch_vccnz .LBB10_15
	s_branch .LBB10_61
.LBB10_11:
	s_mov_b32 s2, 0
                                        ; implicit-def: $vgpr3
                                        ; implicit-def: $sgpr20_sgpr21
	s_cbranch_execnz .LBB10_110
	s_branch .LBB10_140
.LBB10_12:
	s_mov_b32 s2, 0
                                        ; implicit-def: $vgpr3
                                        ; implicit-def: $sgpr20_sgpr21
	s_cbranch_execnz .LBB10_86
	s_branch .LBB10_94
.LBB10_13:
	s_mov_b32 s25, -1
.LBB10_14:
	s_mov_b32 s2, 0
                                        ; implicit-def: $vgpr3
                                        ; implicit-def: $sgpr20_sgpr21
	s_and_b32 vcc_lo, exec_lo, s25
	s_cbranch_vccz .LBB10_61
.LBB10_15:
	s_cmp_eq_u32 s24, 8
	s_cbranch_scc0 .LBB10_22
; %bb.16:
	s_bfe_u32 s2, ttmp6, 0x4000c
	s_and_b32 s3, ttmp6, 15
	s_add_co_i32 s2, s2, 1
	s_getreg_b32 s4, hwreg(HW_REG_IB_STS2, 6, 4)
	s_mul_i32 s2, ttmp9, s2
	s_mov_b32 s21, 0
	s_add_co_i32 s3, s3, s2
	s_cmp_eq_u32 s4, 0
	s_cselect_b32 s20, ttmp9, s3
	s_mov_b32 s3, s21
	s_lshl_b32 s2, s20, 11
	s_lshr_b64 s[4:5], s[18:19], 11
	s_lshl_b64 s[6:7], s[2:3], 3
	s_cmp_lg_u64 s[4:5], s[20:21]
	s_add_nc_u64 s[8:9], s[16:17], s[6:7]
	s_cbranch_scc0 .LBB10_62
; %bb.17:
	s_clause 0x7
	global_load_b64 v[2:3], v0, s[8:9] scale_offset
	global_load_b64 v[4:5], v0, s[8:9] offset:2048 scale_offset
	global_load_b64 v[6:7], v0, s[8:9] offset:4096 scale_offset
	;; [unrolled: 1-line block ×7, first 2 shown]
	s_mov_b32 s3, exec_lo
	s_wait_loadcnt 0x6
	v_min_i32_e32 v1, v4, v2
	v_dual_mov_b32 v5, 0 :: v_dual_max_i32 v2, v3, v5
	s_wait_loadcnt 0x4
	s_delay_alu instid0(VALU_DEP_2) | instskip(NEXT) | instid1(VALU_DEP_2)
	v_min3_i32 v1, v8, v6, v1
	v_max3_i32 v2, v2, v7, v9
	s_wait_loadcnt 0x2
	s_delay_alu instid0(VALU_DEP_2) | instskip(NEXT) | instid1(VALU_DEP_2)
	v_min3_i32 v1, v12, v10, v1
	v_max3_i32 v2, v2, v11, v13
	;; [unrolled: 4-line block ×3, first 2 shown]
	s_delay_alu instid0(VALU_DEP_2) | instskip(NEXT) | instid1(VALU_DEP_2)
	v_mov_b32_dpp v3, v1 quad_perm:[1,0,3,2] row_mask:0xf bank_mask:0xf
	v_mov_b32_dpp v4, v2 quad_perm:[1,0,3,2] row_mask:0xf bank_mask:0xf
	s_delay_alu instid0(VALU_DEP_2) | instskip(NEXT) | instid1(VALU_DEP_2)
	v_min_i32_e32 v1, v1, v3
	v_max_i32_e32 v2, v4, v2
	s_delay_alu instid0(VALU_DEP_2) | instskip(NEXT) | instid1(VALU_DEP_2)
	v_mov_b32_dpp v3, v1 quad_perm:[2,3,0,1] row_mask:0xf bank_mask:0xf
	v_mov_b32_dpp v4, v2 quad_perm:[2,3,0,1] row_mask:0xf bank_mask:0xf
	s_delay_alu instid0(VALU_DEP_2) | instskip(NEXT) | instid1(VALU_DEP_2)
	v_min_i32_e32 v1, v1, v3
	v_max_i32_e32 v2, v4, v2
	s_delay_alu instid0(VALU_DEP_2) | instskip(NEXT) | instid1(VALU_DEP_2)
	v_mov_b32_dpp v3, v1 row_ror:4 row_mask:0xf bank_mask:0xf
	v_mov_b32_dpp v4, v2 row_ror:4 row_mask:0xf bank_mask:0xf
	s_delay_alu instid0(VALU_DEP_2) | instskip(NEXT) | instid1(VALU_DEP_2)
	v_min_i32_e32 v1, v1, v3
	v_max_i32_e32 v2, v4, v2
	s_delay_alu instid0(VALU_DEP_2) | instskip(NEXT) | instid1(VALU_DEP_2)
	v_mov_b32_dpp v3, v1 row_ror:8 row_mask:0xf bank_mask:0xf
	v_mov_b32_dpp v4, v2 row_ror:8 row_mask:0xf bank_mask:0xf
	s_delay_alu instid0(VALU_DEP_2) | instskip(NEXT) | instid1(VALU_DEP_2)
	v_min_i32_e32 v1, v1, v3
	v_max_i32_e32 v2, v4, v2
	ds_swizzle_b32 v3, v1 offset:swizzle(BROADCAST,32,15)
	ds_swizzle_b32 v4, v2 offset:swizzle(BROADCAST,32,15)
	s_wait_dscnt 0x1
	v_min_i32_e32 v1, v1, v3
	s_wait_dscnt 0x0
	v_max_i32_e32 v3, v4, v2
	ds_bpermute_b32 v2, v5, v1 offset:124
	ds_bpermute_b32 v3, v5, v3 offset:124
	v_mbcnt_lo_u32_b32 v1, -1, 0
	s_delay_alu instid0(VALU_DEP_1)
	v_cmpx_eq_u32_e32 0, v1
	s_cbranch_execz .LBB10_19
; %bb.18:
	v_lshrrev_b32_e32 v4, 2, v0
	s_delay_alu instid0(VALU_DEP_1)
	v_and_b32_e32 v4, 56, v4
	s_wait_dscnt 0x0
	ds_store_b64 v4, v[2:3] offset:320
.LBB10_19:
	s_or_b32 exec_lo, exec_lo, s3
	s_delay_alu instid0(SALU_CYCLE_1)
	s_mov_b32 s3, exec_lo
	s_wait_dscnt 0x0
	s_barrier_signal -1
	s_barrier_wait -1
	v_cmpx_gt_u32_e32 32, v0
	s_cbranch_execz .LBB10_21
; %bb.20:
	v_and_b32_e32 v4, 7, v1
	s_delay_alu instid0(VALU_DEP_1) | instskip(SKIP_3) | instid1(VALU_DEP_3)
	v_cmp_ne_u32_e32 vcc_lo, 7, v4
	v_add_co_ci_u32_e64 v5, null, 0, v1, vcc_lo
	v_lshlrev_b32_e32 v2, 3, v4
	v_cmp_gt_u32_e32 vcc_lo, 6, v4
	v_lshlrev_b32_e32 v5, 2, v5
	ds_load_b64 v[2:3], v2 offset:320
	v_cndmask_b32_e64 v4, 0, 2, vcc_lo
	s_delay_alu instid0(VALU_DEP_1) | instskip(SKIP_1) | instid1(VALU_DEP_1)
	v_add_lshl_u32 v4, v4, v1, 2
	v_lshlrev_b32_e32 v1, 2, v1
	v_or_b32_e32 v1, 16, v1
	s_wait_dscnt 0x0
	ds_bpermute_b32 v6, v5, v2
	ds_bpermute_b32 v5, v5, v3
	s_wait_dscnt 0x1
	v_min_i32_e32 v2, v6, v2
	s_wait_dscnt 0x0
	v_max_i32_e32 v3, v3, v5
	ds_bpermute_b32 v5, v4, v2
	ds_bpermute_b32 v4, v4, v3
	s_wait_dscnt 0x1
	v_min_i32_e32 v2, v5, v2
	s_wait_dscnt 0x0
	v_max_i32_e32 v3, v3, v4
	ds_bpermute_b32 v4, v1, v2
	ds_bpermute_b32 v1, v1, v3
	s_wait_dscnt 0x1
	v_min_i32_e32 v2, v4, v2
	s_wait_dscnt 0x0
	v_max_i32_e32 v3, v3, v1
.LBB10_21:
	s_or_b32 exec_lo, exec_lo, s3
	s_mov_b32 s3, 0
	s_branch .LBB10_63
.LBB10_22:
                                        ; implicit-def: $vgpr3
                                        ; implicit-def: $sgpr20_sgpr21
	s_branch .LBB10_94
.LBB10_23:
                                        ; implicit-def: $vgpr3
	s_cbranch_execz .LBB10_10
; %bb.24:
	s_sub_co_i32 s26, s18, s2
	s_mov_b32 s2, exec_lo
                                        ; implicit-def: $vgpr2_vgpr3
	v_cmpx_gt_u32_e64 s26, v0
	s_cbranch_execz .LBB10_26
; %bb.25:
	global_load_b64 v[2:3], v0, s[22:23] scale_offset
.LBB10_26:
	s_wait_xcnt 0x0
	s_or_b32 exec_lo, exec_lo, s2
	v_or_b32_e32 v1, 0x100, v0
                                        ; implicit-def: $vgpr4_vgpr5
	s_delay_alu instid0(VALU_DEP_1)
	v_cmp_gt_u32_e32 vcc_lo, s26, v1
	s_and_saveexec_b32 s2, vcc_lo
	s_cbranch_execz .LBB10_28
; %bb.27:
	global_load_b64 v[4:5], v0, s[22:23] offset:2048 scale_offset
.LBB10_28:
	s_wait_xcnt 0x0
	s_or_b32 exec_lo, exec_lo, s2
	v_or_b32_e32 v1, 0x200, v0
                                        ; implicit-def: $vgpr6_vgpr7
	s_delay_alu instid0(VALU_DEP_1)
	v_cmp_gt_u32_e64 s2, s26, v1
	s_and_saveexec_b32 s3, s2
	s_cbranch_execz .LBB10_30
; %bb.29:
	global_load_b64 v[6:7], v0, s[22:23] offset:4096 scale_offset
.LBB10_30:
	s_wait_xcnt 0x0
	s_or_b32 exec_lo, exec_lo, s3
	v_or_b32_e32 v1, 0x300, v0
                                        ; implicit-def: $vgpr8_vgpr9
	s_delay_alu instid0(VALU_DEP_1)
	v_cmp_gt_u32_e64 s3, s26, v1
	s_and_saveexec_b32 s4, s3
	s_cbranch_execz .LBB10_32
; %bb.31:
	global_load_b64 v[8:9], v0, s[22:23] offset:6144 scale_offset
.LBB10_32:
	s_wait_xcnt 0x0
	s_or_b32 exec_lo, exec_lo, s4
	v_or_b32_e32 v1, 0x400, v0
                                        ; implicit-def: $vgpr10_vgpr11
	s_delay_alu instid0(VALU_DEP_1)
	v_cmp_gt_u32_e64 s4, s26, v1
	s_and_saveexec_b32 s5, s4
	s_cbranch_execz .LBB10_34
; %bb.33:
	global_load_b64 v[10:11], v0, s[22:23] offset:8192 scale_offset
.LBB10_34:
	s_wait_xcnt 0x0
	s_or_b32 exec_lo, exec_lo, s5
	v_or_b32_e32 v1, 0x500, v0
                                        ; implicit-def: $vgpr12_vgpr13
	s_delay_alu instid0(VALU_DEP_1)
	v_cmp_gt_u32_e64 s5, s26, v1
	s_and_saveexec_b32 s6, s5
	s_cbranch_execz .LBB10_36
; %bb.35:
	global_load_b64 v[12:13], v0, s[22:23] offset:10240 scale_offset
.LBB10_36:
	s_wait_xcnt 0x0
	s_or_b32 exec_lo, exec_lo, s6
	v_or_b32_e32 v1, 0x600, v0
                                        ; implicit-def: $vgpr14_vgpr15
	s_delay_alu instid0(VALU_DEP_1)
	v_cmp_gt_u32_e64 s6, s26, v1
	s_and_saveexec_b32 s7, s6
	s_cbranch_execz .LBB10_38
; %bb.37:
	global_load_b64 v[14:15], v0, s[22:23] offset:12288 scale_offset
.LBB10_38:
	s_wait_xcnt 0x0
	s_or_b32 exec_lo, exec_lo, s7
	v_or_b32_e32 v1, 0x700, v0
                                        ; implicit-def: $vgpr16_vgpr17
	s_delay_alu instid0(VALU_DEP_1)
	v_cmp_gt_u32_e64 s7, s26, v1
	s_and_saveexec_b32 s8, s7
	s_cbranch_execz .LBB10_40
; %bb.39:
	global_load_b64 v[16:17], v0, s[22:23] offset:14336 scale_offset
.LBB10_40:
	s_wait_xcnt 0x0
	s_or_b32 exec_lo, exec_lo, s8
	v_or_b32_e32 v1, 0x800, v0
                                        ; implicit-def: $vgpr18_vgpr19
	s_delay_alu instid0(VALU_DEP_1)
	v_cmp_gt_u32_e64 s8, s26, v1
	s_and_saveexec_b32 s9, s8
	s_cbranch_execz .LBB10_42
; %bb.41:
	global_load_b64 v[18:19], v0, s[22:23] offset:16384 scale_offset
.LBB10_42:
	s_wait_xcnt 0x0
	s_or_b32 exec_lo, exec_lo, s9
	v_or_b32_e32 v1, 0x900, v0
                                        ; implicit-def: $vgpr20_vgpr21
	s_delay_alu instid0(VALU_DEP_1)
	v_cmp_gt_u32_e64 s9, s26, v1
	s_and_saveexec_b32 s10, s9
	s_cbranch_execz .LBB10_44
; %bb.43:
	global_load_b64 v[20:21], v0, s[22:23] offset:18432 scale_offset
.LBB10_44:
	s_wait_xcnt 0x0
	s_or_b32 exec_lo, exec_lo, s10
	v_or_b32_e32 v1, 0xa00, v0
                                        ; implicit-def: $vgpr22_vgpr23
	s_delay_alu instid0(VALU_DEP_1)
	v_cmp_gt_u32_e64 s10, s26, v1
	s_and_saveexec_b32 s11, s10
	s_cbranch_execz .LBB10_46
; %bb.45:
	global_load_b64 v[22:23], v0, s[22:23] offset:20480 scale_offset
.LBB10_46:
	s_wait_xcnt 0x0
	s_or_b32 exec_lo, exec_lo, s11
	v_or_b32_e32 v1, 0xb00, v0
                                        ; implicit-def: $vgpr24_vgpr25
	s_delay_alu instid0(VALU_DEP_1)
	v_cmp_gt_u32_e64 s11, s26, v1
	s_and_saveexec_b32 s12, s11
	s_cbranch_execz .LBB10_48
; %bb.47:
	global_load_b64 v[24:25], v0, s[22:23] offset:22528 scale_offset
.LBB10_48:
	s_wait_xcnt 0x0
	s_or_b32 exec_lo, exec_lo, s12
	v_or_b32_e32 v1, 0xc00, v0
                                        ; implicit-def: $vgpr26_vgpr27
	s_delay_alu instid0(VALU_DEP_1)
	v_cmp_gt_u32_e64 s12, s26, v1
	s_and_saveexec_b32 s13, s12
	s_cbranch_execz .LBB10_50
; %bb.49:
	global_load_b64 v[26:27], v0, s[22:23] offset:24576 scale_offset
.LBB10_50:
	s_wait_xcnt 0x0
	s_or_b32 exec_lo, exec_lo, s13
	v_or_b32_e32 v1, 0xd00, v0
                                        ; implicit-def: $vgpr28_vgpr29
	s_delay_alu instid0(VALU_DEP_1)
	v_cmp_gt_u32_e64 s13, s26, v1
	s_and_saveexec_b32 s14, s13
	s_cbranch_execz .LBB10_52
; %bb.51:
	global_load_b64 v[28:29], v0, s[22:23] offset:26624 scale_offset
.LBB10_52:
	s_wait_xcnt 0x0
	s_or_b32 exec_lo, exec_lo, s14
	v_or_b32_e32 v1, 0xe00, v0
                                        ; implicit-def: $vgpr32_vgpr33
	s_delay_alu instid0(VALU_DEP_1)
	v_cmp_gt_u32_e64 s14, s26, v1
	s_and_saveexec_b32 s15, s14
	s_cbranch_execz .LBB10_54
; %bb.53:
	global_load_b64 v[32:33], v0, s[22:23] offset:28672 scale_offset
.LBB10_54:
	s_wait_xcnt 0x0
	s_or_b32 exec_lo, exec_lo, s15
	v_or_b32_e32 v1, 0xf00, v0
                                        ; implicit-def: $vgpr30_vgpr31
	s_delay_alu instid0(VALU_DEP_1)
	v_cmp_gt_u32_e64 s15, s26, v1
	s_and_saveexec_b32 s27, s15
	s_cbranch_execz .LBB10_56
; %bb.55:
	global_load_b64 v[30:31], v0, s[22:23] offset:30720 scale_offset
.LBB10_56:
	s_wait_xcnt 0x0
	s_or_b32 exec_lo, exec_lo, s27
	s_wait_loadcnt 0x0
	v_min_i32_e32 v1, v4, v2
	s_delay_alu instid0(VALU_DEP_1) | instskip(SKIP_1) | instid1(VALU_DEP_1)
	v_cndmask_b32_e32 v1, v2, v1, vcc_lo
	v_max_i32_e32 v4, v3, v5
	v_cndmask_b32_e32 v2, v3, v4, vcc_lo
	s_delay_alu instid0(VALU_DEP_1) | instskip(NEXT) | instid1(VALU_DEP_4)
	v_max_i32_e32 v4, v2, v7
	v_min_i32_e32 v3, v6, v1
	s_delay_alu instid0(VALU_DEP_1) | instskip(SKIP_1) | instid1(VALU_DEP_1)
	v_dual_cndmask_b32 v1, v1, v3, s2 :: v_dual_cndmask_b32 v2, v2, v4, s2
	s_min_u32 s2, s26, 0x100
	v_min_i32_e32 v3, v8, v1
	s_delay_alu instid0(VALU_DEP_1) | instskip(NEXT) | instid1(VALU_DEP_1)
	v_dual_cndmask_b32 v1, v1, v3, s3 :: v_dual_max_i32 v4, v2, v9
	v_min_i32_e32 v3, v10, v1
	s_delay_alu instid0(VALU_DEP_2) | instskip(SKIP_1) | instid1(VALU_DEP_2)
	v_cndmask_b32_e64 v2, v2, v4, s3
	s_mov_b32 s3, exec_lo
	v_cndmask_b32_e64 v1, v1, v3, s4
	s_delay_alu instid0(VALU_DEP_2) | instskip(NEXT) | instid1(VALU_DEP_1)
	v_max_i32_e32 v4, v2, v11
	v_dual_cndmask_b32 v2, v2, v4, s4 :: v_dual_min_i32 v3, v12, v1
	s_delay_alu instid0(VALU_DEP_1) | instskip(NEXT) | instid1(VALU_DEP_1)
	v_dual_cndmask_b32 v1, v1, v3, s5 :: v_dual_max_i32 v4, v2, v13
	v_min_i32_e32 v3, v14, v1
	s_delay_alu instid0(VALU_DEP_1) | instskip(NEXT) | instid1(VALU_DEP_1)
	v_dual_cndmask_b32 v2, v2, v4, s5 :: v_dual_cndmask_b32 v1, v1, v3, s6
	v_max_i32_e32 v4, v2, v15
	s_delay_alu instid0(VALU_DEP_1) | instskip(NEXT) | instid1(VALU_DEP_1)
	v_dual_cndmask_b32 v2, v2, v4, s6 :: v_dual_min_i32 v3, v16, v1
	v_dual_cndmask_b32 v1, v1, v3, s7 :: v_dual_max_i32 v4, v2, v17
	s_delay_alu instid0(VALU_DEP_1) | instskip(NEXT) | instid1(VALU_DEP_1)
	v_min_i32_e32 v3, v18, v1
	v_dual_cndmask_b32 v2, v2, v4, s7 :: v_dual_cndmask_b32 v1, v1, v3, s8
	s_delay_alu instid0(VALU_DEP_1) | instskip(NEXT) | instid1(VALU_DEP_1)
	v_max_i32_e32 v4, v2, v19
	v_dual_cndmask_b32 v2, v2, v4, s8 :: v_dual_min_i32 v3, v20, v1
	s_delay_alu instid0(VALU_DEP_1) | instskip(NEXT) | instid1(VALU_DEP_1)
	v_dual_cndmask_b32 v1, v1, v3, s9 :: v_dual_max_i32 v4, v2, v21
	v_min_i32_e32 v3, v22, v1
	s_delay_alu instid0(VALU_DEP_1) | instskip(NEXT) | instid1(VALU_DEP_1)
	v_dual_cndmask_b32 v2, v2, v4, s9 :: v_dual_cndmask_b32 v1, v1, v3, s10
	v_max_i32_e32 v4, v2, v23
	s_delay_alu instid0(VALU_DEP_1) | instskip(NEXT) | instid1(VALU_DEP_1)
	v_dual_cndmask_b32 v2, v2, v4, s10 :: v_dual_min_i32 v3, v24, v1
	v_dual_cndmask_b32 v1, v1, v3, s11 :: v_dual_max_i32 v4, v2, v25
	s_delay_alu instid0(VALU_DEP_1) | instskip(NEXT) | instid1(VALU_DEP_1)
	v_min_i32_e32 v3, v26, v1
	v_dual_cndmask_b32 v2, v2, v4, s11 :: v_dual_cndmask_b32 v1, v1, v3, s12
	s_delay_alu instid0(VALU_DEP_1) | instskip(NEXT) | instid1(VALU_DEP_1)
	v_max_i32_e32 v4, v2, v27
	v_dual_cndmask_b32 v2, v2, v4, s12 :: v_dual_min_i32 v3, v28, v1
	s_delay_alu instid0(VALU_DEP_1) | instskip(SKIP_1) | instid1(VALU_DEP_2)
	v_dual_cndmask_b32 v3, v1, v3, s13 :: v_dual_max_i32 v4, v2, v29
	v_mbcnt_lo_u32_b32 v1, -1, 0
	v_dual_cndmask_b32 v2, v2, v4, s13 :: v_dual_min_i32 v4, v32, v3
	s_delay_alu instid0(VALU_DEP_2) | instskip(SKIP_1) | instid1(VALU_DEP_3)
	v_cmp_ne_u32_e32 vcc_lo, 31, v1
	v_add_nc_u32_e32 v7, 1, v1
	v_dual_cndmask_b32 v3, v3, v4, s14 :: v_dual_max_i32 v5, v2, v33
	v_add_co_ci_u32_e64 v4, null, 0, v1, vcc_lo
	v_cmp_gt_u32_e32 vcc_lo, 30, v1
	s_delay_alu instid0(VALU_DEP_3) | instskip(NEXT) | instid1(VALU_DEP_3)
	v_cndmask_b32_e64 v2, v2, v5, s14
	v_dual_lshlrev_b32 v4, 2, v4 :: v_dual_min_i32 v5, v30, v3
	v_cndmask_b32_e64 v8, 0, 2, vcc_lo
	s_delay_alu instid0(VALU_DEP_2) | instskip(NEXT) | instid1(VALU_DEP_1)
	v_dual_cndmask_b32 v3, v3, v5, s15 :: v_dual_max_i32 v6, v2, v31
	v_cndmask_b32_e64 v2, v2, v6, s15
	ds_bpermute_b32 v5, v4, v3
	v_and_b32_e32 v6, 0xe0, v0
	ds_bpermute_b32 v4, v4, v2
	v_sub_nc_u32_e64 v6, s2, v6 clamp
	s_delay_alu instid0(VALU_DEP_1) | instskip(SKIP_4) | instid1(VALU_DEP_1)
	v_cmp_lt_u32_e32 vcc_lo, v7, v6
	v_add_lshl_u32 v7, v8, v1, 2
	s_wait_dscnt 0x1
	v_min_i32_e32 v5, v5, v3
	s_wait_dscnt 0x0
	v_dual_cndmask_b32 v3, v3, v5 :: v_dual_max_i32 v4, v2, v4
	s_delay_alu instid0(VALU_DEP_1)
	v_cndmask_b32_e32 v2, v2, v4, vcc_lo
	ds_bpermute_b32 v4, v7, v3
	v_cmp_gt_u32_e32 vcc_lo, 28, v1
	ds_bpermute_b32 v5, v7, v2
	v_add_nc_u32_e32 v7, 2, v1
	v_cndmask_b32_e64 v8, 0, 4, vcc_lo
	s_delay_alu instid0(VALU_DEP_2) | instskip(NEXT) | instid1(VALU_DEP_2)
	v_cmp_lt_u32_e32 vcc_lo, v7, v6
	v_add_lshl_u32 v7, v8, v1, 2
	s_wait_dscnt 0x1
	v_min_i32_e32 v4, v4, v3
	s_wait_dscnt 0x0
	s_delay_alu instid0(VALU_DEP_1) | instskip(NEXT) | instid1(VALU_DEP_1)
	v_dual_cndmask_b32 v3, v3, v4, vcc_lo :: v_dual_max_i32 v5, v2, v5
	v_cndmask_b32_e32 v2, v2, v5, vcc_lo
	ds_bpermute_b32 v4, v7, v3
	v_cmp_gt_u32_e32 vcc_lo, 24, v1
	ds_bpermute_b32 v5, v7, v2
	v_add_nc_u32_e32 v7, 4, v1
	v_cndmask_b32_e64 v8, 0, 8, vcc_lo
	s_delay_alu instid0(VALU_DEP_2) | instskip(NEXT) | instid1(VALU_DEP_2)
	v_cmp_lt_u32_e32 vcc_lo, v7, v6
	v_add_lshl_u32 v7, v8, v1, 2
	s_wait_dscnt 0x1
	v_dual_add_nc_u32 v8, 8, v1 :: v_dual_min_i32 v4, v4, v3
	s_wait_dscnt 0x0
	s_delay_alu instid0(VALU_DEP_1) | instskip(SKIP_1) | instid1(VALU_DEP_2)
	v_dual_cndmask_b32 v3, v3, v4, vcc_lo :: v_dual_max_i32 v5, v2, v5
	v_lshlrev_b32_e32 v4, 2, v1
	v_cndmask_b32_e32 v2, v2, v5, vcc_lo
	ds_bpermute_b32 v5, v7, v3
	v_cmp_lt_u32_e32 vcc_lo, v8, v6
	ds_bpermute_b32 v7, v7, v2
	s_wait_dscnt 0x1
	v_min_i32_e32 v5, v5, v3
	s_wait_dscnt 0x0
	v_max_i32_e32 v7, v2, v7
	s_delay_alu instid0(VALU_DEP_2) | instskip(NEXT) | instid1(VALU_DEP_2)
	v_dual_cndmask_b32 v3, v3, v5, vcc_lo :: v_dual_bitop2_b32 v8, 64, v4 bitop3:0x54
	v_cndmask_b32_e32 v5, v2, v7, vcc_lo
	ds_bpermute_b32 v7, v8, v3
	ds_bpermute_b32 v2, v8, v5
	v_add_nc_u32_e32 v8, 16, v1
	s_delay_alu instid0(VALU_DEP_1) | instskip(SKIP_3) | instid1(VALU_DEP_1)
	v_cmp_lt_u32_e32 vcc_lo, v8, v6
	s_wait_dscnt 0x0
	v_max_i32_e32 v9, v5, v2
	v_min_i32_e32 v2, v7, v3
	v_dual_cndmask_b32 v2, v3, v2 :: v_dual_cndmask_b32 v3, v5, v9
	v_cmpx_eq_u32_e32 0, v1
; %bb.57:
	v_lshrrev_b32_e32 v5, 2, v0
	s_delay_alu instid0(VALU_DEP_1)
	v_and_b32_e32 v5, 56, v5
	ds_store_b64 v5, v[2:3]
; %bb.58:
	s_or_b32 exec_lo, exec_lo, s3
	s_delay_alu instid0(SALU_CYCLE_1)
	s_mov_b32 s3, exec_lo
	s_wait_dscnt 0x0
	s_barrier_signal -1
	s_barrier_wait -1
	v_cmpx_gt_u32_e32 8, v0
	s_cbranch_execz .LBB10_60
; %bb.59:
	v_dual_lshlrev_b32 v2, 3, v1 :: v_dual_bitop2_b32 v5, 7, v1 bitop3:0x40
	s_add_co_i32 s2, s2, 31
	s_delay_alu instid0(SALU_CYCLE_1)
	s_lshr_b32 s2, s2, 5
	ds_load_b64 v[2:3], v2
	v_cmp_ne_u32_e32 vcc_lo, 7, v5
	v_add_nc_u32_e32 v8, 1, v5
	v_add_co_ci_u32_e64 v6, null, 0, v1, vcc_lo
	v_cmp_gt_u32_e32 vcc_lo, 6, v5
	s_delay_alu instid0(VALU_DEP_2) | instskip(SKIP_2) | instid1(VALU_DEP_2)
	v_lshlrev_b32_e32 v6, 2, v6
	v_cndmask_b32_e64 v9, 0, 2, vcc_lo
	v_cmp_gt_u32_e32 vcc_lo, s2, v8
	v_add_lshl_u32 v1, v9, v1, 2
	s_wait_dscnt 0x0
	ds_bpermute_b32 v7, v6, v2
	ds_bpermute_b32 v6, v6, v3
	s_wait_dscnt 0x1
	v_min_i32_e32 v7, v7, v2
	s_wait_dscnt 0x0
	s_delay_alu instid0(VALU_DEP_1) | instskip(NEXT) | instid1(VALU_DEP_1)
	v_dual_cndmask_b32 v2, v2, v7, vcc_lo :: v_dual_max_i32 v6, v3, v6
	v_dual_cndmask_b32 v3, v3, v6, vcc_lo :: v_dual_add_nc_u32 v7, 2, v5
	v_add_nc_u32_e32 v5, 4, v5
	ds_bpermute_b32 v6, v1, v2
	ds_bpermute_b32 v1, v1, v3
	v_cmp_gt_u32_e32 vcc_lo, s2, v7
	s_wait_dscnt 0x0
	v_max_i32_e32 v1, v3, v1
	s_delay_alu instid0(VALU_DEP_1) | instskip(NEXT) | instid1(VALU_DEP_1)
	v_dual_cndmask_b32 v1, v3, v1 :: v_dual_min_i32 v6, v6, v2
	v_cndmask_b32_e32 v2, v2, v6, vcc_lo
	v_cmp_gt_u32_e32 vcc_lo, s2, v5
	v_or_b32_e32 v4, 16, v4
	ds_bpermute_b32 v3, v4, v1
	s_wait_dscnt 0x0
	v_max_i32_e32 v3, v1, v3
	s_delay_alu instid0(VALU_DEP_1) | instskip(SKIP_3) | instid1(VALU_DEP_1)
	v_cndmask_b32_e32 v3, v1, v3, vcc_lo
	ds_bpermute_b32 v4, v4, v2
	s_wait_dscnt 0x0
	v_min_i32_e32 v4, v4, v2
	v_cndmask_b32_e32 v2, v2, v4, vcc_lo
.LBB10_60:
	s_or_b32 exec_lo, exec_lo, s3
	v_cmp_eq_u32_e64 s2, 0, v0
	s_and_b32 vcc_lo, exec_lo, s25
	s_cbranch_vccnz .LBB10_15
.LBB10_61:
	s_branch .LBB10_94
.LBB10_62:
	s_mov_b32 s3, -1
                                        ; implicit-def: $vgpr3
.LBB10_63:
	s_delay_alu instid0(SALU_CYCLE_1)
	s_and_b32 vcc_lo, exec_lo, s3
	s_cbranch_vccz .LBB10_85
; %bb.64:
	s_sub_co_i32 s10, s18, s2
	s_mov_b32 s2, exec_lo
                                        ; implicit-def: $vgpr2_vgpr3
	v_cmpx_gt_u32_e64 s10, v0
	s_cbranch_execz .LBB10_66
; %bb.65:
	global_load_b64 v[2:3], v0, s[8:9] scale_offset
.LBB10_66:
	s_wait_xcnt 0x0
	s_or_b32 exec_lo, exec_lo, s2
	v_or_b32_e32 v1, 0x100, v0
                                        ; implicit-def: $vgpr4_vgpr5
	s_delay_alu instid0(VALU_DEP_1)
	v_cmp_gt_u32_e32 vcc_lo, s10, v1
	s_and_saveexec_b32 s2, vcc_lo
	s_cbranch_execz .LBB10_68
; %bb.67:
	global_load_b64 v[4:5], v0, s[8:9] offset:2048 scale_offset
.LBB10_68:
	s_wait_xcnt 0x0
	s_or_b32 exec_lo, exec_lo, s2
	v_or_b32_e32 v1, 0x200, v0
                                        ; implicit-def: $vgpr6_vgpr7
	s_delay_alu instid0(VALU_DEP_1)
	v_cmp_gt_u32_e64 s2, s10, v1
	s_and_saveexec_b32 s3, s2
	s_cbranch_execz .LBB10_70
; %bb.69:
	global_load_b64 v[6:7], v0, s[8:9] offset:4096 scale_offset
.LBB10_70:
	s_wait_xcnt 0x0
	s_or_b32 exec_lo, exec_lo, s3
	v_or_b32_e32 v1, 0x300, v0
                                        ; implicit-def: $vgpr8_vgpr9
	s_delay_alu instid0(VALU_DEP_1)
	v_cmp_gt_u32_e64 s3, s10, v1
	s_and_saveexec_b32 s4, s3
	s_cbranch_execz .LBB10_72
; %bb.71:
	global_load_b64 v[8:9], v0, s[8:9] offset:6144 scale_offset
.LBB10_72:
	s_wait_xcnt 0x0
	s_or_b32 exec_lo, exec_lo, s4
	v_or_b32_e32 v1, 0x400, v0
                                        ; implicit-def: $vgpr10_vgpr11
	s_delay_alu instid0(VALU_DEP_1)
	v_cmp_gt_u32_e64 s4, s10, v1
	s_and_saveexec_b32 s5, s4
	s_cbranch_execz .LBB10_74
; %bb.73:
	global_load_b64 v[10:11], v0, s[8:9] offset:8192 scale_offset
.LBB10_74:
	s_wait_xcnt 0x0
	s_or_b32 exec_lo, exec_lo, s5
	v_or_b32_e32 v1, 0x500, v0
                                        ; implicit-def: $vgpr12_vgpr13
	s_delay_alu instid0(VALU_DEP_1)
	v_cmp_gt_u32_e64 s5, s10, v1
	s_and_saveexec_b32 s6, s5
	s_cbranch_execz .LBB10_76
; %bb.75:
	global_load_b64 v[12:13], v0, s[8:9] offset:10240 scale_offset
.LBB10_76:
	s_wait_xcnt 0x0
	s_or_b32 exec_lo, exec_lo, s6
	v_or_b32_e32 v1, 0x600, v0
                                        ; implicit-def: $vgpr16_vgpr17
	s_delay_alu instid0(VALU_DEP_1)
	v_cmp_gt_u32_e64 s6, s10, v1
	s_and_saveexec_b32 s7, s6
	s_cbranch_execz .LBB10_78
; %bb.77:
	global_load_b64 v[16:17], v0, s[8:9] offset:12288 scale_offset
.LBB10_78:
	s_wait_xcnt 0x0
	s_or_b32 exec_lo, exec_lo, s7
	v_or_b32_e32 v1, 0x700, v0
                                        ; implicit-def: $vgpr14_vgpr15
	s_delay_alu instid0(VALU_DEP_1)
	v_cmp_gt_u32_e64 s7, s10, v1
	s_and_saveexec_b32 s11, s7
	s_cbranch_execz .LBB10_80
; %bb.79:
	global_load_b64 v[14:15], v0, s[8:9] offset:14336 scale_offset
.LBB10_80:
	s_wait_xcnt 0x0
	s_or_b32 exec_lo, exec_lo, s11
	s_wait_loadcnt 0x0
	v_min_i32_e32 v1, v4, v2
	s_delay_alu instid0(VALU_DEP_1) | instskip(SKIP_1) | instid1(VALU_DEP_1)
	v_cndmask_b32_e32 v1, v2, v1, vcc_lo
	v_max_i32_e32 v4, v3, v5
	v_cndmask_b32_e32 v2, v3, v4, vcc_lo
	s_delay_alu instid0(VALU_DEP_1) | instskip(NEXT) | instid1(VALU_DEP_4)
	v_max_i32_e32 v4, v2, v7
	v_min_i32_e32 v3, v6, v1
	s_delay_alu instid0(VALU_DEP_1) | instskip(SKIP_1) | instid1(VALU_DEP_1)
	v_dual_cndmask_b32 v1, v1, v3, s2 :: v_dual_cndmask_b32 v2, v2, v4, s2
	s_min_u32 s2, s10, 0x100
	v_min_i32_e32 v3, v8, v1
	s_delay_alu instid0(VALU_DEP_1) | instskip(NEXT) | instid1(VALU_DEP_1)
	v_dual_cndmask_b32 v1, v1, v3, s3 :: v_dual_max_i32 v4, v2, v9
	v_min_i32_e32 v3, v10, v1
	s_delay_alu instid0(VALU_DEP_2) | instskip(SKIP_1) | instid1(VALU_DEP_2)
	v_cndmask_b32_e64 v2, v2, v4, s3
	s_mov_b32 s3, exec_lo
	v_cndmask_b32_e64 v1, v1, v3, s4
	s_delay_alu instid0(VALU_DEP_2) | instskip(NEXT) | instid1(VALU_DEP_1)
	v_max_i32_e32 v4, v2, v11
	v_dual_cndmask_b32 v2, v2, v4, s4 :: v_dual_min_i32 v3, v12, v1
	s_delay_alu instid0(VALU_DEP_1) | instskip(SKIP_1) | instid1(VALU_DEP_2)
	v_dual_cndmask_b32 v3, v1, v3, s5 :: v_dual_max_i32 v4, v2, v13
	v_mbcnt_lo_u32_b32 v1, -1, 0
	v_dual_cndmask_b32 v2, v2, v4, s5 :: v_dual_min_i32 v4, v16, v3
	s_delay_alu instid0(VALU_DEP_2) | instskip(SKIP_1) | instid1(VALU_DEP_3)
	v_cmp_ne_u32_e32 vcc_lo, 31, v1
	v_add_nc_u32_e32 v7, 1, v1
	v_dual_cndmask_b32 v3, v3, v4, s6 :: v_dual_max_i32 v5, v2, v17
	v_add_co_ci_u32_e64 v4, null, 0, v1, vcc_lo
	v_cmp_gt_u32_e32 vcc_lo, 30, v1
	s_delay_alu instid0(VALU_DEP_3) | instskip(NEXT) | instid1(VALU_DEP_3)
	v_cndmask_b32_e64 v2, v2, v5, s6
	v_dual_lshlrev_b32 v4, 2, v4 :: v_dual_min_i32 v5, v14, v3
	v_cndmask_b32_e64 v8, 0, 2, vcc_lo
	s_delay_alu instid0(VALU_DEP_2) | instskip(SKIP_3) | instid1(VALU_DEP_1)
	v_dual_cndmask_b32 v3, v3, v5, s7 :: v_dual_max_i32 v6, v2, v15
	ds_bpermute_b32 v5, v4, v3
	v_cndmask_b32_e64 v2, v2, v6, s7
	v_and_b32_e32 v6, 0xe0, v0
	v_sub_nc_u32_e64 v6, s2, v6 clamp
	s_delay_alu instid0(VALU_DEP_1)
	v_cmp_lt_u32_e32 vcc_lo, v7, v6
	v_add_lshl_u32 v7, v8, v1, 2
	s_wait_dscnt 0x0
	v_min_i32_e32 v5, v5, v3
	ds_bpermute_b32 v4, v4, v2
	s_wait_dscnt 0x0
	v_dual_cndmask_b32 v3, v3, v5 :: v_dual_max_i32 v4, v2, v4
	s_delay_alu instid0(VALU_DEP_1)
	v_cndmask_b32_e32 v2, v2, v4, vcc_lo
	ds_bpermute_b32 v4, v7, v3
	v_cmp_gt_u32_e32 vcc_lo, 28, v1
	v_cndmask_b32_e64 v8, 0, 4, vcc_lo
	s_wait_dscnt 0x0
	v_min_i32_e32 v4, v4, v3
	ds_bpermute_b32 v5, v7, v2
	v_add_nc_u32_e32 v7, 2, v1
	s_delay_alu instid0(VALU_DEP_1)
	v_cmp_lt_u32_e32 vcc_lo, v7, v6
	v_add_lshl_u32 v7, v8, v1, 2
	v_cndmask_b32_e32 v3, v3, v4, vcc_lo
	ds_bpermute_b32 v4, v7, v3
	s_wait_dscnt 0x1
	v_max_i32_e32 v5, v2, v5
	s_delay_alu instid0(VALU_DEP_1)
	v_cndmask_b32_e32 v2, v2, v5, vcc_lo
	v_cmp_gt_u32_e32 vcc_lo, 24, v1
	v_cndmask_b32_e64 v8, 0, 8, vcc_lo
	s_wait_dscnt 0x0
	v_min_i32_e32 v4, v4, v3
	ds_bpermute_b32 v5, v7, v2
	v_add_nc_u32_e32 v7, 4, v1
	s_delay_alu instid0(VALU_DEP_1)
	v_cmp_lt_u32_e32 vcc_lo, v7, v6
	v_add_lshl_u32 v7, v8, v1, 2
	v_dual_cndmask_b32 v3, v3, v4 :: v_dual_add_nc_u32 v8, 8, v1
	v_lshlrev_b32_e32 v4, 2, v1
	s_wait_dscnt 0x0
	v_max_i32_e32 v5, v2, v5
	s_delay_alu instid0(VALU_DEP_1)
	v_cndmask_b32_e32 v2, v2, v5, vcc_lo
	ds_bpermute_b32 v5, v7, v3
	v_cmp_lt_u32_e32 vcc_lo, v8, v6
	s_wait_dscnt 0x0
	v_min_i32_e32 v5, v5, v3
	ds_bpermute_b32 v7, v7, v2
	s_wait_dscnt 0x0
	v_dual_cndmask_b32 v3, v3, v5, vcc_lo :: v_dual_max_i32 v7, v2, v7
	s_delay_alu instid0(VALU_DEP_1) | instskip(SKIP_4) | instid1(VALU_DEP_1)
	v_dual_cndmask_b32 v5, v2, v7, vcc_lo :: v_dual_bitop2_b32 v8, 64, v4 bitop3:0x54
	ds_bpermute_b32 v7, v8, v3
	ds_bpermute_b32 v2, v8, v5
	s_wait_dscnt 0x0
	v_dual_add_nc_u32 v8, 16, v1 :: v_dual_max_i32 v9, v5, v2
	v_cmp_lt_u32_e32 vcc_lo, v8, v6
	v_min_i32_e32 v2, v7, v3
	s_delay_alu instid0(VALU_DEP_1)
	v_dual_cndmask_b32 v2, v3, v2 :: v_dual_cndmask_b32 v3, v5, v9
	v_cmpx_eq_u32_e32 0, v1
; %bb.81:
	v_lshrrev_b32_e32 v5, 2, v0
	s_delay_alu instid0(VALU_DEP_1)
	v_and_b32_e32 v5, 56, v5
	ds_store_b64 v5, v[2:3]
; %bb.82:
	s_or_b32 exec_lo, exec_lo, s3
	s_delay_alu instid0(SALU_CYCLE_1)
	s_mov_b32 s3, exec_lo
	s_wait_dscnt 0x0
	s_barrier_signal -1
	s_barrier_wait -1
	v_cmpx_gt_u32_e32 8, v0
	s_cbranch_execz .LBB10_84
; %bb.83:
	v_dual_lshlrev_b32 v2, 3, v1 :: v_dual_bitop2_b32 v5, 7, v1 bitop3:0x40
	s_add_co_i32 s2, s2, 31
	s_delay_alu instid0(SALU_CYCLE_1)
	s_lshr_b32 s2, s2, 5
	ds_load_b64 v[2:3], v2
	v_cmp_ne_u32_e32 vcc_lo, 7, v5
	v_add_nc_u32_e32 v8, 1, v5
	v_add_co_ci_u32_e64 v6, null, 0, v1, vcc_lo
	v_cmp_gt_u32_e32 vcc_lo, 6, v5
	s_delay_alu instid0(VALU_DEP_2) | instskip(SKIP_2) | instid1(VALU_DEP_2)
	v_lshlrev_b32_e32 v6, 2, v6
	v_cndmask_b32_e64 v9, 0, 2, vcc_lo
	v_cmp_gt_u32_e32 vcc_lo, s2, v8
	v_add_lshl_u32 v1, v9, v1, 2
	s_wait_dscnt 0x0
	ds_bpermute_b32 v7, v6, v2
	ds_bpermute_b32 v6, v6, v3
	s_wait_dscnt 0x1
	v_min_i32_e32 v7, v7, v2
	s_wait_dscnt 0x0
	s_delay_alu instid0(VALU_DEP_1) | instskip(NEXT) | instid1(VALU_DEP_1)
	v_dual_cndmask_b32 v2, v2, v7, vcc_lo :: v_dual_max_i32 v6, v3, v6
	v_dual_cndmask_b32 v3, v3, v6, vcc_lo :: v_dual_add_nc_u32 v7, 2, v5
	v_add_nc_u32_e32 v5, 4, v5
	ds_bpermute_b32 v6, v1, v2
	ds_bpermute_b32 v1, v1, v3
	v_cmp_gt_u32_e32 vcc_lo, s2, v7
	s_wait_dscnt 0x0
	v_max_i32_e32 v1, v3, v1
	s_delay_alu instid0(VALU_DEP_1) | instskip(NEXT) | instid1(VALU_DEP_1)
	v_dual_cndmask_b32 v1, v3, v1 :: v_dual_min_i32 v6, v6, v2
	v_cndmask_b32_e32 v2, v2, v6, vcc_lo
	v_cmp_gt_u32_e32 vcc_lo, s2, v5
	v_or_b32_e32 v4, 16, v4
	ds_bpermute_b32 v3, v4, v1
	s_wait_dscnt 0x0
	v_max_i32_e32 v3, v1, v3
	s_delay_alu instid0(VALU_DEP_1) | instskip(SKIP_3) | instid1(VALU_DEP_1)
	v_cndmask_b32_e32 v3, v1, v3, vcc_lo
	ds_bpermute_b32 v4, v4, v2
	s_wait_dscnt 0x0
	v_min_i32_e32 v4, v4, v2
	v_cndmask_b32_e32 v2, v2, v4, vcc_lo
.LBB10_84:
	s_or_b32 exec_lo, exec_lo, s3
.LBB10_85:
	v_cmp_eq_u32_e64 s2, 0, v0
	s_branch .LBB10_94
.LBB10_86:
	s_cmp_eq_u32 s24, 4
	s_cbranch_scc0 .LBB10_93
; %bb.87:
	s_bfe_u32 s2, ttmp6, 0x4000c
	s_and_b32 s3, ttmp6, 15
	s_add_co_i32 s2, s2, 1
	s_getreg_b32 s4, hwreg(HW_REG_IB_STS2, 6, 4)
	s_mul_i32 s2, ttmp9, s2
	s_mov_b32 s21, 0
	s_add_co_i32 s3, s3, s2
	s_cmp_eq_u32 s4, 0
	s_cselect_b32 s20, ttmp9, s3
	s_mov_b32 s3, s21
	s_lshl_b32 s2, s20, 10
	s_lshr_b64 s[4:5], s[18:19], 10
	s_lshl_b64 s[6:7], s[2:3], 3
	s_cmp_lg_u64 s[4:5], s[20:21]
	s_add_nc_u64 s[4:5], s[16:17], s[6:7]
	s_cbranch_scc0 .LBB10_95
; %bb.88:
	s_clause 0x3
	global_load_b64 v[2:3], v0, s[4:5] scale_offset
	global_load_b64 v[4:5], v0, s[4:5] offset:2048 scale_offset
	global_load_b64 v[6:7], v0, s[4:5] offset:4096 scale_offset
	;; [unrolled: 1-line block ×3, first 2 shown]
	s_mov_b32 s3, exec_lo
	s_wait_loadcnt 0x2
	v_min_i32_e32 v1, v4, v2
	v_dual_mov_b32 v5, 0 :: v_dual_max_i32 v2, v3, v5
	s_wait_loadcnt 0x0
	s_delay_alu instid0(VALU_DEP_2) | instskip(NEXT) | instid1(VALU_DEP_2)
	v_min3_i32 v1, v8, v6, v1
	v_max3_i32 v2, v2, v7, v9
	s_delay_alu instid0(VALU_DEP_2) | instskip(NEXT) | instid1(VALU_DEP_2)
	v_mov_b32_dpp v3, v1 quad_perm:[1,0,3,2] row_mask:0xf bank_mask:0xf
	v_mov_b32_dpp v4, v2 quad_perm:[1,0,3,2] row_mask:0xf bank_mask:0xf
	s_delay_alu instid0(VALU_DEP_2) | instskip(NEXT) | instid1(VALU_DEP_2)
	v_min_i32_e32 v1, v1, v3
	v_max_i32_e32 v2, v4, v2
	s_delay_alu instid0(VALU_DEP_2) | instskip(NEXT) | instid1(VALU_DEP_2)
	v_mov_b32_dpp v3, v1 quad_perm:[2,3,0,1] row_mask:0xf bank_mask:0xf
	v_mov_b32_dpp v4, v2 quad_perm:[2,3,0,1] row_mask:0xf bank_mask:0xf
	s_delay_alu instid0(VALU_DEP_2) | instskip(NEXT) | instid1(VALU_DEP_2)
	v_min_i32_e32 v1, v1, v3
	v_max_i32_e32 v2, v4, v2
	s_delay_alu instid0(VALU_DEP_2) | instskip(NEXT) | instid1(VALU_DEP_2)
	v_mov_b32_dpp v3, v1 row_ror:4 row_mask:0xf bank_mask:0xf
	v_mov_b32_dpp v4, v2 row_ror:4 row_mask:0xf bank_mask:0xf
	s_delay_alu instid0(VALU_DEP_2) | instskip(NEXT) | instid1(VALU_DEP_2)
	v_min_i32_e32 v1, v1, v3
	v_max_i32_e32 v2, v4, v2
	s_delay_alu instid0(VALU_DEP_2) | instskip(NEXT) | instid1(VALU_DEP_2)
	v_mov_b32_dpp v3, v1 row_ror:8 row_mask:0xf bank_mask:0xf
	v_mov_b32_dpp v4, v2 row_ror:8 row_mask:0xf bank_mask:0xf
	s_delay_alu instid0(VALU_DEP_2) | instskip(NEXT) | instid1(VALU_DEP_2)
	v_min_i32_e32 v1, v1, v3
	v_max_i32_e32 v2, v4, v2
	ds_swizzle_b32 v3, v1 offset:swizzle(BROADCAST,32,15)
	ds_swizzle_b32 v4, v2 offset:swizzle(BROADCAST,32,15)
	s_wait_dscnt 0x1
	v_min_i32_e32 v1, v1, v3
	s_wait_dscnt 0x0
	v_max_i32_e32 v3, v4, v2
	ds_bpermute_b32 v2, v5, v1 offset:124
	ds_bpermute_b32 v3, v5, v3 offset:124
	v_mbcnt_lo_u32_b32 v1, -1, 0
	s_delay_alu instid0(VALU_DEP_1)
	v_cmpx_eq_u32_e32 0, v1
	s_cbranch_execz .LBB10_90
; %bb.89:
	v_lshrrev_b32_e32 v4, 2, v0
	s_delay_alu instid0(VALU_DEP_1)
	v_and_b32_e32 v4, 56, v4
	s_wait_dscnt 0x0
	ds_store_b64 v4, v[2:3] offset:256
.LBB10_90:
	s_or_b32 exec_lo, exec_lo, s3
	s_delay_alu instid0(SALU_CYCLE_1)
	s_mov_b32 s3, exec_lo
	s_wait_dscnt 0x0
	s_barrier_signal -1
	s_barrier_wait -1
	v_cmpx_gt_u32_e32 32, v0
	s_cbranch_execz .LBB10_92
; %bb.91:
	v_and_b32_e32 v4, 7, v1
	s_delay_alu instid0(VALU_DEP_1) | instskip(SKIP_3) | instid1(VALU_DEP_3)
	v_cmp_ne_u32_e32 vcc_lo, 7, v4
	v_add_co_ci_u32_e64 v5, null, 0, v1, vcc_lo
	v_lshlrev_b32_e32 v2, 3, v4
	v_cmp_gt_u32_e32 vcc_lo, 6, v4
	v_lshlrev_b32_e32 v5, 2, v5
	ds_load_b64 v[2:3], v2 offset:256
	v_cndmask_b32_e64 v4, 0, 2, vcc_lo
	s_delay_alu instid0(VALU_DEP_1) | instskip(SKIP_1) | instid1(VALU_DEP_1)
	v_add_lshl_u32 v4, v4, v1, 2
	v_lshlrev_b32_e32 v1, 2, v1
	v_or_b32_e32 v1, 16, v1
	s_wait_dscnt 0x0
	ds_bpermute_b32 v6, v5, v2
	ds_bpermute_b32 v5, v5, v3
	s_wait_dscnt 0x1
	v_min_i32_e32 v2, v6, v2
	s_wait_dscnt 0x0
	v_max_i32_e32 v3, v3, v5
	ds_bpermute_b32 v5, v4, v2
	ds_bpermute_b32 v4, v4, v3
	s_wait_dscnt 0x1
	v_min_i32_e32 v2, v5, v2
	s_wait_dscnt 0x0
	v_max_i32_e32 v3, v3, v4
	;; [unrolled: 6-line block ×3, first 2 shown]
.LBB10_92:
	s_or_b32 exec_lo, exec_lo, s3
	s_branch .LBB10_109
.LBB10_93:
                                        ; implicit-def: $vgpr3
                                        ; implicit-def: $sgpr20_sgpr21
.LBB10_94:
	s_branch .LBB10_140
.LBB10_95:
                                        ; implicit-def: $vgpr3
	s_cbranch_execz .LBB10_109
; %bb.96:
	s_sub_co_i32 s6, s18, s2
	s_mov_b32 s2, exec_lo
                                        ; implicit-def: $vgpr2_vgpr3
	v_cmpx_gt_u32_e64 s6, v0
	s_cbranch_execz .LBB10_98
; %bb.97:
	global_load_b64 v[2:3], v0, s[4:5] scale_offset
.LBB10_98:
	s_wait_xcnt 0x0
	s_or_b32 exec_lo, exec_lo, s2
	v_or_b32_e32 v1, 0x100, v0
                                        ; implicit-def: $vgpr4_vgpr5
	s_delay_alu instid0(VALU_DEP_1)
	v_cmp_gt_u32_e32 vcc_lo, s6, v1
	s_and_saveexec_b32 s2, vcc_lo
	s_cbranch_execz .LBB10_100
; %bb.99:
	global_load_b64 v[4:5], v0, s[4:5] offset:2048 scale_offset
.LBB10_100:
	s_wait_xcnt 0x0
	s_or_b32 exec_lo, exec_lo, s2
	v_or_b32_e32 v1, 0x200, v0
                                        ; implicit-def: $vgpr8_vgpr9
	s_delay_alu instid0(VALU_DEP_1)
	v_cmp_gt_u32_e64 s2, s6, v1
	s_and_saveexec_b32 s3, s2
	s_cbranch_execz .LBB10_102
; %bb.101:
	global_load_b64 v[8:9], v0, s[4:5] offset:4096 scale_offset
.LBB10_102:
	s_wait_xcnt 0x0
	s_or_b32 exec_lo, exec_lo, s3
	v_or_b32_e32 v1, 0x300, v0
                                        ; implicit-def: $vgpr6_vgpr7
	s_delay_alu instid0(VALU_DEP_1)
	v_cmp_gt_u32_e64 s3, s6, v1
	s_and_saveexec_b32 s7, s3
	s_cbranch_execz .LBB10_104
; %bb.103:
	global_load_b64 v[6:7], v0, s[4:5] offset:6144 scale_offset
.LBB10_104:
	s_wait_xcnt 0x0
	s_or_b32 exec_lo, exec_lo, s7
	s_wait_loadcnt 0x0
	v_min_i32_e32 v1, v4, v2
	v_max_i32_e32 v4, v3, v5
	s_delay_alu instid0(VALU_DEP_1) | instskip(NEXT) | instid1(VALU_DEP_1)
	v_cndmask_b32_e32 v3, v3, v4, vcc_lo
	v_max_i32_e32 v5, v3, v9
	s_delay_alu instid0(VALU_DEP_1) | instskip(SKIP_2) | instid1(VALU_DEP_2)
	v_cndmask_b32_e64 v3, v3, v5, s2
	v_cndmask_b32_e32 v2, v2, v1, vcc_lo
	v_mbcnt_lo_u32_b32 v1, -1, 0
	v_min_i32_e32 v4, v8, v2
	s_delay_alu instid0(VALU_DEP_2) | instskip(NEXT) | instid1(VALU_DEP_2)
	v_cmp_ne_u32_e32 vcc_lo, 31, v1
	v_cndmask_b32_e64 v2, v2, v4, s2
	v_add_co_ci_u32_e64 v4, null, 0, v1, vcc_lo
	s_min_u32 s2, s6, 0x100
	v_cmp_gt_u32_e32 vcc_lo, 30, v1
	v_dual_lshlrev_b32 v4, 2, v4 :: v_dual_min_i32 v5, v6, v2
	v_dual_add_nc_u32 v7, 1, v1 :: v_dual_max_i32 v6, v3, v7
	v_cndmask_b32_e64 v8, 0, 2, vcc_lo
	s_delay_alu instid0(VALU_DEP_2)
	v_dual_cndmask_b32 v2, v2, v5, s3 :: v_dual_cndmask_b32 v3, v3, v6, s3
	v_and_b32_e32 v6, 0xe0, v0
	s_mov_b32 s3, exec_lo
	ds_bpermute_b32 v5, v4, v2
	ds_bpermute_b32 v4, v4, v3
	v_sub_nc_u32_e64 v6, s2, v6 clamp
	s_delay_alu instid0(VALU_DEP_1) | instskip(SKIP_3) | instid1(VALU_DEP_1)
	v_cmp_lt_u32_e32 vcc_lo, v7, v6
	v_add_lshl_u32 v7, v8, v1, 2
	s_wait_dscnt 0x0
	v_max_i32_e32 v4, v3, v4
	v_dual_cndmask_b32 v3, v3, v4, vcc_lo :: v_dual_min_i32 v5, v5, v2
	s_delay_alu instid0(VALU_DEP_1)
	v_cndmask_b32_e32 v2, v2, v5, vcc_lo
	v_cmp_gt_u32_e32 vcc_lo, 28, v1
	ds_bpermute_b32 v5, v7, v3
	ds_bpermute_b32 v4, v7, v2
	v_add_nc_u32_e32 v7, 2, v1
	v_cndmask_b32_e64 v8, 0, 4, vcc_lo
	s_wait_dscnt 0x0
	v_min_i32_e32 v4, v4, v2
	s_delay_alu instid0(VALU_DEP_3) | instskip(SKIP_2) | instid1(VALU_DEP_4)
	v_cmp_lt_u32_e32 vcc_lo, v7, v6
	v_max_i32_e32 v5, v3, v5
	v_add_lshl_u32 v7, v8, v1, 2
	v_cndmask_b32_e32 v2, v2, v4, vcc_lo
	ds_bpermute_b32 v4, v7, v2
	v_cndmask_b32_e32 v3, v3, v5, vcc_lo
	v_cmp_gt_u32_e32 vcc_lo, 24, v1
	v_cndmask_b32_e64 v8, 0, 8, vcc_lo
	s_wait_dscnt 0x0
	v_min_i32_e32 v4, v4, v2
	ds_bpermute_b32 v5, v7, v3
	v_add_nc_u32_e32 v7, 4, v1
	s_delay_alu instid0(VALU_DEP_1)
	v_cmp_lt_u32_e32 vcc_lo, v7, v6
	v_add_lshl_u32 v7, v8, v1, 2
	v_dual_add_nc_u32 v8, 8, v1 :: v_dual_cndmask_b32 v2, v2, v4, vcc_lo
	v_lshlrev_b32_e32 v4, 2, v1
	s_wait_dscnt 0x0
	v_max_i32_e32 v5, v3, v5
	s_delay_alu instid0(VALU_DEP_1)
	v_cndmask_b32_e32 v3, v3, v5, vcc_lo
	ds_bpermute_b32 v5, v7, v2
	v_cmp_lt_u32_e32 vcc_lo, v8, v6
	s_wait_dscnt 0x0
	v_min_i32_e32 v5, v5, v2
	ds_bpermute_b32 v7, v7, v3
	v_dual_cndmask_b32 v2, v2, v5, vcc_lo :: v_dual_bitop2_b32 v8, 64, v4 bitop3:0x54
	s_wait_dscnt 0x0
	v_max_i32_e32 v7, v3, v7
	s_delay_alu instid0(VALU_DEP_1) | instskip(SKIP_4) | instid1(VALU_DEP_1)
	v_cndmask_b32_e32 v3, v3, v7, vcc_lo
	ds_bpermute_b32 v7, v8, v2
	ds_bpermute_b32 v5, v8, v3
	s_wait_dscnt 0x1
	v_dual_add_nc_u32 v8, 16, v1 :: v_dual_min_i32 v7, v7, v2
	v_cmp_lt_u32_e32 vcc_lo, v8, v6
	s_wait_dscnt 0x0
	s_delay_alu instid0(VALU_DEP_2) | instskip(NEXT) | instid1(VALU_DEP_1)
	v_dual_cndmask_b32 v2, v2, v7 :: v_dual_max_i32 v5, v3, v5
	v_cndmask_b32_e32 v3, v3, v5, vcc_lo
	v_cmpx_eq_u32_e32 0, v1
; %bb.105:
	v_lshrrev_b32_e32 v5, 2, v0
	s_delay_alu instid0(VALU_DEP_1)
	v_and_b32_e32 v5, 56, v5
	ds_store_b64 v5, v[2:3]
; %bb.106:
	s_or_b32 exec_lo, exec_lo, s3
	s_delay_alu instid0(SALU_CYCLE_1)
	s_mov_b32 s3, exec_lo
	s_wait_dscnt 0x0
	s_barrier_signal -1
	s_barrier_wait -1
	v_cmpx_gt_u32_e32 8, v0
	s_cbranch_execz .LBB10_108
; %bb.107:
	v_dual_lshlrev_b32 v2, 3, v1 :: v_dual_bitop2_b32 v5, 7, v1 bitop3:0x40
	s_add_co_i32 s2, s2, 31
	s_delay_alu instid0(SALU_CYCLE_1)
	s_lshr_b32 s2, s2, 5
	ds_load_b64 v[2:3], v2
	v_cmp_ne_u32_e32 vcc_lo, 7, v5
	v_add_nc_u32_e32 v8, 1, v5
	v_add_co_ci_u32_e64 v6, null, 0, v1, vcc_lo
	v_cmp_gt_u32_e32 vcc_lo, 6, v5
	s_delay_alu instid0(VALU_DEP_2) | instskip(SKIP_2) | instid1(VALU_DEP_2)
	v_lshlrev_b32_e32 v6, 2, v6
	v_cndmask_b32_e64 v9, 0, 2, vcc_lo
	v_cmp_gt_u32_e32 vcc_lo, s2, v8
	v_add_lshl_u32 v1, v9, v1, 2
	s_wait_dscnt 0x0
	ds_bpermute_b32 v7, v6, v2
	ds_bpermute_b32 v6, v6, v3
	s_wait_dscnt 0x1
	v_min_i32_e32 v7, v7, v2
	s_wait_dscnt 0x0
	s_delay_alu instid0(VALU_DEP_1) | instskip(NEXT) | instid1(VALU_DEP_1)
	v_dual_cndmask_b32 v2, v2, v7, vcc_lo :: v_dual_max_i32 v6, v3, v6
	v_dual_cndmask_b32 v3, v3, v6, vcc_lo :: v_dual_add_nc_u32 v7, 2, v5
	v_add_nc_u32_e32 v5, 4, v5
	ds_bpermute_b32 v6, v1, v2
	ds_bpermute_b32 v1, v1, v3
	v_cmp_gt_u32_e32 vcc_lo, s2, v7
	s_wait_dscnt 0x0
	v_max_i32_e32 v1, v3, v1
	s_delay_alu instid0(VALU_DEP_1) | instskip(NEXT) | instid1(VALU_DEP_1)
	v_dual_cndmask_b32 v1, v3, v1 :: v_dual_min_i32 v6, v6, v2
	v_cndmask_b32_e32 v2, v2, v6, vcc_lo
	v_cmp_gt_u32_e32 vcc_lo, s2, v5
	v_or_b32_e32 v4, 16, v4
	ds_bpermute_b32 v3, v4, v1
	s_wait_dscnt 0x0
	v_max_i32_e32 v3, v1, v3
	s_delay_alu instid0(VALU_DEP_1) | instskip(SKIP_3) | instid1(VALU_DEP_1)
	v_cndmask_b32_e32 v3, v1, v3, vcc_lo
	ds_bpermute_b32 v4, v4, v2
	s_wait_dscnt 0x0
	v_min_i32_e32 v4, v4, v2
	v_cndmask_b32_e32 v2, v2, v4, vcc_lo
.LBB10_108:
	s_or_b32 exec_lo, exec_lo, s3
.LBB10_109:
	v_cmp_eq_u32_e64 s2, 0, v0
	s_branch .LBB10_140
.LBB10_110:
	s_cmp_gt_i32 s24, 1
	s_cbranch_scc0 .LBB10_118
; %bb.111:
	s_cmp_eq_u32 s24, 2
	s_cbranch_scc0 .LBB10_119
; %bb.112:
	s_bfe_u32 s2, ttmp6, 0x4000c
	s_and_b32 s3, ttmp6, 15
	s_add_co_i32 s2, s2, 1
	s_getreg_b32 s4, hwreg(HW_REG_IB_STS2, 6, 4)
	s_mul_i32 s2, ttmp9, s2
	s_mov_b32 s21, 0
	s_add_co_i32 s3, s3, s2
	s_cmp_eq_u32 s4, 0
	s_mov_b32 s5, s21
	s_cselect_b32 s20, ttmp9, s3
	s_lshr_b64 s[2:3], s[18:19], 9
	s_lshl_b32 s4, s20, 9
	s_delay_alu instid0(SALU_CYCLE_1)
	s_lshl_b64 s[6:7], s[4:5], 3
	s_cmp_lg_u64 s[2:3], s[20:21]
	s_add_nc_u64 s[2:3], s[16:17], s[6:7]
	s_cbranch_scc0 .LBB10_120
; %bb.113:
	s_clause 0x1
	global_load_b64 v[2:3], v0, s[2:3] scale_offset
	global_load_b64 v[4:5], v0, s[2:3] offset:2048 scale_offset
	s_mov_b32 s5, exec_lo
	s_wait_loadcnt 0x0
	v_min_i32_e32 v1, v4, v2
	v_dual_mov_b32 v5, 0 :: v_dual_max_i32 v2, v3, v5
	s_delay_alu instid0(VALU_DEP_2) | instskip(NEXT) | instid1(VALU_DEP_2)
	v_mov_b32_dpp v3, v1 quad_perm:[1,0,3,2] row_mask:0xf bank_mask:0xf
	v_mov_b32_dpp v4, v2 quad_perm:[1,0,3,2] row_mask:0xf bank_mask:0xf
	s_delay_alu instid0(VALU_DEP_2) | instskip(NEXT) | instid1(VALU_DEP_2)
	v_min_i32_e32 v1, v1, v3
	v_max_i32_e32 v2, v4, v2
	s_delay_alu instid0(VALU_DEP_2) | instskip(NEXT) | instid1(VALU_DEP_2)
	v_mov_b32_dpp v3, v1 quad_perm:[2,3,0,1] row_mask:0xf bank_mask:0xf
	v_mov_b32_dpp v4, v2 quad_perm:[2,3,0,1] row_mask:0xf bank_mask:0xf
	s_delay_alu instid0(VALU_DEP_2) | instskip(NEXT) | instid1(VALU_DEP_2)
	v_min_i32_e32 v1, v1, v3
	v_max_i32_e32 v2, v4, v2
	s_delay_alu instid0(VALU_DEP_2) | instskip(NEXT) | instid1(VALU_DEP_2)
	v_mov_b32_dpp v3, v1 row_ror:4 row_mask:0xf bank_mask:0xf
	v_mov_b32_dpp v4, v2 row_ror:4 row_mask:0xf bank_mask:0xf
	s_delay_alu instid0(VALU_DEP_2) | instskip(NEXT) | instid1(VALU_DEP_2)
	v_min_i32_e32 v1, v1, v3
	v_max_i32_e32 v2, v4, v2
	s_delay_alu instid0(VALU_DEP_2) | instskip(NEXT) | instid1(VALU_DEP_2)
	v_mov_b32_dpp v3, v1 row_ror:8 row_mask:0xf bank_mask:0xf
	v_mov_b32_dpp v4, v2 row_ror:8 row_mask:0xf bank_mask:0xf
	s_delay_alu instid0(VALU_DEP_2) | instskip(NEXT) | instid1(VALU_DEP_2)
	v_min_i32_e32 v1, v1, v3
	v_max_i32_e32 v2, v4, v2
	ds_swizzle_b32 v3, v1 offset:swizzle(BROADCAST,32,15)
	ds_swizzle_b32 v4, v2 offset:swizzle(BROADCAST,32,15)
	s_wait_dscnt 0x1
	v_min_i32_e32 v1, v1, v3
	s_wait_dscnt 0x0
	v_max_i32_e32 v3, v4, v2
	ds_bpermute_b32 v2, v5, v1 offset:124
	ds_bpermute_b32 v3, v5, v3 offset:124
	v_mbcnt_lo_u32_b32 v1, -1, 0
	s_delay_alu instid0(VALU_DEP_1)
	v_cmpx_eq_u32_e32 0, v1
	s_cbranch_execz .LBB10_115
; %bb.114:
	v_lshrrev_b32_e32 v4, 2, v0
	s_delay_alu instid0(VALU_DEP_1)
	v_and_b32_e32 v4, 56, v4
	s_wait_dscnt 0x0
	ds_store_b64 v4, v[2:3] offset:192
.LBB10_115:
	s_or_b32 exec_lo, exec_lo, s5
	s_delay_alu instid0(SALU_CYCLE_1)
	s_mov_b32 s5, exec_lo
	s_wait_dscnt 0x0
	s_barrier_signal -1
	s_barrier_wait -1
	v_cmpx_gt_u32_e32 32, v0
	s_cbranch_execz .LBB10_117
; %bb.116:
	v_lshl_or_b32 v2, v1, 3, 0xc0
	v_and_b32_e32 v4, 7, v1
	ds_load_b64 v[2:3], v2
	v_cmp_ne_u32_e32 vcc_lo, 7, v4
	v_add_co_ci_u32_e64 v5, null, 0, v1, vcc_lo
	v_cmp_gt_u32_e32 vcc_lo, 6, v4
	s_delay_alu instid0(VALU_DEP_2) | instskip(SKIP_1) | instid1(VALU_DEP_1)
	v_lshlrev_b32_e32 v5, 2, v5
	v_cndmask_b32_e64 v4, 0, 2, vcc_lo
	v_add_lshl_u32 v4, v4, v1, 2
	v_lshlrev_b32_e32 v1, 2, v1
	s_wait_dscnt 0x0
	ds_bpermute_b32 v6, v5, v2
	v_or_b32_e32 v1, 16, v1
	s_wait_dscnt 0x0
	v_min_i32_e32 v2, v6, v2
	ds_bpermute_b32 v5, v5, v3
	s_wait_dscnt 0x0
	v_max_i32_e32 v3, v3, v5
	ds_bpermute_b32 v5, v4, v2
	ds_bpermute_b32 v4, v4, v3
	s_wait_dscnt 0x1
	v_min_i32_e32 v2, v5, v2
	s_wait_dscnt 0x0
	v_max_i32_e32 v3, v3, v4
	ds_bpermute_b32 v4, v1, v2
	ds_bpermute_b32 v1, v1, v3
	s_wait_dscnt 0x1
	v_min_i32_e32 v2, v4, v2
	s_wait_dscnt 0x0
	v_max_i32_e32 v3, v3, v1
.LBB10_117:
	s_or_b32 exec_lo, exec_lo, s5
	s_branch .LBB10_130
.LBB10_118:
                                        ; implicit-def: $vgpr3
                                        ; implicit-def: $sgpr20_sgpr21
	s_cbranch_execnz .LBB10_131
	s_branch .LBB10_140
.LBB10_119:
                                        ; implicit-def: $vgpr3
                                        ; implicit-def: $sgpr20_sgpr21
	s_branch .LBB10_140
.LBB10_120:
                                        ; implicit-def: $vgpr2
	s_cbranch_execz .LBB10_130
; %bb.121:
	s_sub_co_i32 s4, s18, s4
	s_mov_b32 s5, exec_lo
                                        ; implicit-def: $vgpr2_vgpr3
	v_cmpx_gt_u32_e64 s4, v0
	s_cbranch_execz .LBB10_123
; %bb.122:
	global_load_b64 v[2:3], v0, s[2:3] scale_offset
.LBB10_123:
	s_wait_xcnt 0x0
	s_or_b32 exec_lo, exec_lo, s5
	v_or_b32_e32 v1, 0x100, v0
                                        ; implicit-def: $vgpr4_vgpr5
	s_delay_alu instid0(VALU_DEP_1)
	v_cmp_gt_u32_e32 vcc_lo, s4, v1
	s_and_saveexec_b32 s5, vcc_lo
	s_cbranch_execz .LBB10_125
; %bb.124:
	global_load_b64 v[4:5], v0, s[2:3] offset:2048 scale_offset
.LBB10_125:
	s_wait_xcnt 0x0
	s_or_b32 exec_lo, exec_lo, s5
	v_mbcnt_lo_u32_b32 v1, -1, 0
	s_wait_loadcnt 0x0
	v_min_i32_e32 v4, v4, v2
	v_max_i32_e32 v5, v3, v5
	s_mov_b32 s3, exec_lo
	v_cmp_ne_u32_e64 s2, 31, v1
	s_delay_alu instid0(VALU_DEP_2) | instskip(SKIP_2) | instid1(VALU_DEP_4)
	v_dual_cndmask_b32 v2, v2, v4 :: v_dual_cndmask_b32 v3, v3, v5
	v_cmp_gt_u32_e32 vcc_lo, 30, v1
	v_add_nc_u32_e32 v7, 1, v1
	v_add_co_ci_u32_e64 v6, null, 0, v1, s2
	s_min_u32 s2, s4, 0x100
	v_cndmask_b32_e64 v8, 0, 2, vcc_lo
	v_lshlrev_b32_e32 v5, 2, v6
	v_and_b32_e32 v6, 0xe0, v0
	ds_bpermute_b32 v4, v5, v3
	ds_bpermute_b32 v5, v5, v2
	v_sub_nc_u32_e64 v6, s2, v6 clamp
	s_delay_alu instid0(VALU_DEP_1) | instskip(SKIP_3) | instid1(VALU_DEP_1)
	v_cmp_lt_u32_e32 vcc_lo, v7, v6
	v_add_lshl_u32 v7, v8, v1, 2
	s_wait_dscnt 0x0
	v_min_i32_e32 v5, v5, v2
	v_dual_cndmask_b32 v2, v2, v5, vcc_lo :: v_dual_max_i32 v4, v3, v4
	s_delay_alu instid0(VALU_DEP_1)
	v_cndmask_b32_e32 v3, v3, v4, vcc_lo
	v_cmp_gt_u32_e32 vcc_lo, 28, v1
	ds_bpermute_b32 v5, v7, v2
	ds_bpermute_b32 v4, v7, v3
	v_add_nc_u32_e32 v7, 2, v1
	v_cndmask_b32_e64 v8, 0, 4, vcc_lo
	s_wait_dscnt 0x0
	v_max_i32_e32 v4, v3, v4
	s_delay_alu instid0(VALU_DEP_3) | instskip(SKIP_2) | instid1(VALU_DEP_4)
	v_cmp_lt_u32_e32 vcc_lo, v7, v6
	v_min_i32_e32 v5, v5, v2
	v_add_lshl_u32 v7, v8, v1, 2
	v_cndmask_b32_e32 v3, v3, v4, vcc_lo
	ds_bpermute_b32 v4, v7, v3
	v_cndmask_b32_e32 v2, v2, v5, vcc_lo
	v_cmp_gt_u32_e32 vcc_lo, 24, v1
	v_cndmask_b32_e64 v8, 0, 8, vcc_lo
	s_wait_dscnt 0x0
	v_max_i32_e32 v4, v3, v4
	ds_bpermute_b32 v5, v7, v2
	s_wait_dscnt 0x0
	v_dual_add_nc_u32 v7, 4, v1 :: v_dual_min_i32 v5, v5, v2
	s_delay_alu instid0(VALU_DEP_1) | instskip(SKIP_2) | instid1(VALU_DEP_4)
	v_cmp_lt_u32_e32 vcc_lo, v7, v6
	v_add_lshl_u32 v7, v8, v1, 2
	v_dual_cndmask_b32 v3, v3, v4 :: v_dual_add_nc_u32 v8, 8, v1
	v_cndmask_b32_e32 v2, v2, v5, vcc_lo
	v_lshlrev_b32_e32 v4, 2, v1
	s_delay_alu instid0(VALU_DEP_3) | instskip(SKIP_4) | instid1(VALU_DEP_1)
	v_cmp_lt_u32_e32 vcc_lo, v8, v6
	ds_bpermute_b32 v5, v7, v3
	ds_bpermute_b32 v7, v7, v2
	s_wait_dscnt 0x0
	v_min_i32_e32 v7, v7, v2
	v_dual_cndmask_b32 v2, v2, v7 :: v_dual_max_i32 v5, v3, v5
	s_delay_alu instid0(VALU_DEP_1) | instskip(SKIP_3) | instid1(VALU_DEP_1)
	v_dual_cndmask_b32 v3, v3, v5, vcc_lo :: v_dual_bitop2_b32 v8, 64, v4 bitop3:0x54
	ds_bpermute_b32 v7, v8, v2
	ds_bpermute_b32 v5, v8, v3
	v_add_nc_u32_e32 v8, 16, v1
	v_cmp_lt_u32_e32 vcc_lo, v8, v6
	s_wait_dscnt 0x1
	v_min_i32_e32 v7, v7, v2
	s_wait_dscnt 0x0
	s_delay_alu instid0(VALU_DEP_1) | instskip(NEXT) | instid1(VALU_DEP_1)
	v_dual_cndmask_b32 v2, v2, v7 :: v_dual_max_i32 v5, v3, v5
	v_cndmask_b32_e32 v3, v3, v5, vcc_lo
	v_cmpx_eq_u32_e32 0, v1
; %bb.126:
	v_lshrrev_b32_e32 v5, 2, v0
	s_delay_alu instid0(VALU_DEP_1)
	v_and_b32_e32 v5, 56, v5
	ds_store_b64 v5, v[2:3]
; %bb.127:
	s_or_b32 exec_lo, exec_lo, s3
	s_delay_alu instid0(SALU_CYCLE_1)
	s_mov_b32 s3, exec_lo
	s_wait_dscnt 0x0
	s_barrier_signal -1
	s_barrier_wait -1
	v_cmpx_gt_u32_e32 8, v0
	s_cbranch_execz .LBB10_129
; %bb.128:
	v_dual_lshlrev_b32 v2, 3, v1 :: v_dual_bitop2_b32 v5, 7, v1 bitop3:0x40
	s_add_co_i32 s2, s2, 31
	s_delay_alu instid0(SALU_CYCLE_1)
	s_lshr_b32 s2, s2, 5
	ds_load_b64 v[2:3], v2
	v_cmp_ne_u32_e32 vcc_lo, 7, v5
	v_add_nc_u32_e32 v8, 1, v5
	v_add_co_ci_u32_e64 v6, null, 0, v1, vcc_lo
	v_cmp_gt_u32_e32 vcc_lo, 6, v5
	s_delay_alu instid0(VALU_DEP_2) | instskip(SKIP_2) | instid1(VALU_DEP_2)
	v_lshlrev_b32_e32 v6, 2, v6
	v_cndmask_b32_e64 v9, 0, 2, vcc_lo
	v_cmp_gt_u32_e32 vcc_lo, s2, v8
	v_add_lshl_u32 v1, v9, v1, 2
	s_wait_dscnt 0x0
	ds_bpermute_b32 v7, v6, v3
	ds_bpermute_b32 v6, v6, v2
	s_wait_dscnt 0x0
	v_min_i32_e32 v6, v6, v2
	s_delay_alu instid0(VALU_DEP_1) | instskip(NEXT) | instid1(VALU_DEP_1)
	v_dual_cndmask_b32 v2, v2, v6 :: v_dual_max_i32 v7, v3, v7
	v_cndmask_b32_e32 v3, v3, v7, vcc_lo
	ds_bpermute_b32 v6, v1, v3
	ds_bpermute_b32 v1, v1, v2
	v_dual_add_nc_u32 v7, 2, v5 :: v_dual_add_nc_u32 v5, 4, v5
	s_wait_dscnt 0x1
	v_max_i32_e32 v6, v3, v6
	s_delay_alu instid0(VALU_DEP_2) | instskip(SKIP_2) | instid1(VALU_DEP_3)
	v_cmp_gt_u32_e32 vcc_lo, s2, v7
	s_wait_dscnt 0x0
	v_min_i32_e32 v1, v1, v2
	v_dual_cndmask_b32 v3, v3, v6, vcc_lo :: v_dual_bitop2_b32 v4, 16, v4 bitop3:0x54
	s_delay_alu instid0(VALU_DEP_2)
	v_cndmask_b32_e32 v1, v2, v1, vcc_lo
	v_cmp_gt_u32_e32 vcc_lo, s2, v5
	ds_bpermute_b32 v2, v4, v3
	s_wait_dscnt 0x0
	v_max_i32_e32 v2, v3, v2
	ds_bpermute_b32 v4, v4, v1
	s_wait_dscnt 0x0
	v_dual_cndmask_b32 v3, v3, v2 :: v_dual_min_i32 v4, v4, v1
	s_delay_alu instid0(VALU_DEP_1)
	v_cndmask_b32_e32 v2, v1, v4, vcc_lo
.LBB10_129:
	s_or_b32 exec_lo, exec_lo, s3
.LBB10_130:
	v_cmp_eq_u32_e64 s2, 0, v0
	s_branch .LBB10_140
.LBB10_131:
	s_cmp_eq_u32 s24, 1
	s_cbranch_scc0 .LBB10_139
; %bb.132:
	s_bfe_u32 s2, ttmp6, 0x4000c
	s_and_b32 s4, ttmp6, 15
	s_add_co_i32 s2, s2, 1
	s_getreg_b32 s5, hwreg(HW_REG_IB_STS2, 6, 4)
	s_mul_i32 s2, ttmp9, s2
	s_mov_b32 s3, 0
	s_add_co_i32 s4, s4, s2
	s_cmp_eq_u32 s5, 0
	v_mbcnt_lo_u32_b32 v1, -1, 0
	s_cselect_b32 s20, ttmp9, s4
	s_mov_b32 s21, s3
	s_lshr_b64 s[4:5], s[18:19], 8
	s_lshl_b32 s2, s20, 8
	s_cmp_lg_u64 s[4:5], s[20:21]
	s_cbranch_scc0 .LBB10_143
; %bb.133:
	s_lshl_b64 s[4:5], s[2:3], 3
	v_mov_b32_e32 v6, 0
	s_add_nc_u64 s[4:5], s[16:17], s[4:5]
	global_load_b64 v[2:3], v0, s[4:5] scale_offset
	s_wait_xcnt 0x0
	s_mov_b32 s4, exec_lo
	s_wait_loadcnt 0x0
	v_mov_b32_dpp v4, v2 quad_perm:[1,0,3,2] row_mask:0xf bank_mask:0xf
	v_mov_b32_dpp v5, v3 quad_perm:[1,0,3,2] row_mask:0xf bank_mask:0xf
	s_delay_alu instid0(VALU_DEP_2) | instskip(NEXT) | instid1(VALU_DEP_2)
	v_min_i32_e32 v2, v2, v4
	v_max_i32_e32 v3, v5, v3
	s_delay_alu instid0(VALU_DEP_2) | instskip(NEXT) | instid1(VALU_DEP_2)
	v_mov_b32_dpp v4, v2 quad_perm:[2,3,0,1] row_mask:0xf bank_mask:0xf
	v_mov_b32_dpp v5, v3 quad_perm:[2,3,0,1] row_mask:0xf bank_mask:0xf
	s_delay_alu instid0(VALU_DEP_2) | instskip(NEXT) | instid1(VALU_DEP_2)
	v_min_i32_e32 v2, v2, v4
	v_max_i32_e32 v3, v5, v3
	s_delay_alu instid0(VALU_DEP_2) | instskip(NEXT) | instid1(VALU_DEP_2)
	v_mov_b32_dpp v4, v2 row_ror:4 row_mask:0xf bank_mask:0xf
	v_mov_b32_dpp v5, v3 row_ror:4 row_mask:0xf bank_mask:0xf
	s_delay_alu instid0(VALU_DEP_2) | instskip(NEXT) | instid1(VALU_DEP_2)
	v_min_i32_e32 v2, v2, v4
	v_max_i32_e32 v3, v5, v3
	s_delay_alu instid0(VALU_DEP_2) | instskip(NEXT) | instid1(VALU_DEP_2)
	v_mov_b32_dpp v4, v2 row_ror:8 row_mask:0xf bank_mask:0xf
	v_mov_b32_dpp v5, v3 row_ror:8 row_mask:0xf bank_mask:0xf
	s_delay_alu instid0(VALU_DEP_2) | instskip(NEXT) | instid1(VALU_DEP_2)
	v_min_i32_e32 v2, v2, v4
	v_max_i32_e32 v3, v5, v3
	ds_swizzle_b32 v4, v2 offset:swizzle(BROADCAST,32,15)
	ds_swizzle_b32 v5, v3 offset:swizzle(BROADCAST,32,15)
	s_wait_dscnt 0x1
	v_min_i32_e32 v2, v2, v4
	s_wait_dscnt 0x0
	v_max_i32_e32 v3, v5, v3
	ds_bpermute_b32 v2, v6, v2 offset:124
	ds_bpermute_b32 v3, v6, v3 offset:124
	v_cmpx_eq_u32_e32 0, v1
	s_cbranch_execz .LBB10_135
; %bb.134:
	v_lshrrev_b32_e32 v4, 2, v0
	s_delay_alu instid0(VALU_DEP_1)
	v_and_b32_e32 v4, 56, v4
	s_wait_dscnt 0x0
	ds_store_b64 v4, v[2:3] offset:128
.LBB10_135:
	s_or_b32 exec_lo, exec_lo, s4
	s_delay_alu instid0(SALU_CYCLE_1)
	s_mov_b32 s4, exec_lo
	s_wait_dscnt 0x0
	s_barrier_signal -1
	s_barrier_wait -1
	v_cmpx_gt_u32_e32 32, v0
	s_cbranch_execz .LBB10_137
; %bb.136:
	v_and_b32_e32 v4, 7, v1
	s_delay_alu instid0(VALU_DEP_1) | instskip(SKIP_1) | instid1(VALU_DEP_1)
	v_cmp_ne_u32_e32 vcc_lo, 7, v4
	v_add_co_ci_u32_e64 v5, null, 0, v1, vcc_lo
	v_dual_lshlrev_b32 v2, 3, v4 :: v_dual_lshlrev_b32 v5, 2, v5
	ds_load_b64 v[2:3], v2 offset:128
	s_wait_dscnt 0x0
	ds_bpermute_b32 v6, v5, v2
	ds_bpermute_b32 v5, v5, v3
	s_wait_dscnt 0x1
	v_dual_lshlrev_b32 v6, 2, v1 :: v_dual_min_i32 v2, v6, v2
	v_cmp_gt_u32_e32 vcc_lo, 6, v4
	s_wait_dscnt 0x0
	v_max_i32_e32 v3, v3, v5
	s_delay_alu instid0(VALU_DEP_3) | instskip(SKIP_1) | instid1(VALU_DEP_1)
	v_or_b32_e32 v6, 16, v6
	v_cndmask_b32_e64 v4, 0, 2, vcc_lo
	v_add_lshl_u32 v4, v4, v1, 2
	ds_bpermute_b32 v5, v4, v2
	ds_bpermute_b32 v4, v4, v3
	s_wait_dscnt 0x1
	v_min_i32_e32 v2, v5, v2
	s_wait_dscnt 0x0
	v_max_i32_e32 v3, v3, v4
	ds_bpermute_b32 v4, v6, v2
	ds_bpermute_b32 v5, v6, v3
	s_wait_dscnt 0x1
	v_min_i32_e32 v2, v4, v2
	s_wait_dscnt 0x0
	v_max_i32_e32 v3, v3, v5
.LBB10_137:
	s_or_b32 exec_lo, exec_lo, s4
.LBB10_138:
	v_cmp_eq_u32_e64 s2, 0, v0
	s_and_saveexec_b32 s3, s2
	s_cbranch_execnz .LBB10_141
	s_branch .LBB10_142
.LBB10_139:
                                        ; implicit-def: $vgpr3
                                        ; implicit-def: $sgpr20_sgpr21
.LBB10_140:
	s_delay_alu instid0(VALU_DEP_1)
	s_and_saveexec_b32 s3, s2
	s_cbranch_execz .LBB10_142
.LBB10_141:
	s_load_b128 s[4:7], s[0:1], 0x18
	s_wait_xcnt 0x0
	s_lshl_b64 s[0:1], s[20:21], 3
	s_cmp_eq_u64 s[18:19], 0
	s_cselect_b32 s2, -1, 0
	s_wait_kmcnt 0x0
	v_dual_mov_b32 v2, 0 :: v_dual_min_i32 v0, s6, v2
	v_max_i32_e32 v1, s7, v3
	s_add_nc_u64 s[0:1], s[4:5], s[0:1]
	s_delay_alu instid0(VALU_DEP_2) | instskip(NEXT) | instid1(VALU_DEP_2)
	v_cndmask_b32_e64 v0, v0, s6, s2
	v_cndmask_b32_e64 v1, v1, s7, s2
	global_store_b64 v2, v[0:1], s[0:1]
.LBB10_142:
	s_endpgm
.LBB10_143:
                                        ; implicit-def: $vgpr3
	s_cbranch_execz .LBB10_138
; %bb.144:
	s_sub_co_i32 s4, s18, s2
	s_mov_b32 s5, exec_lo
                                        ; implicit-def: $vgpr2_vgpr3
	v_cmpx_gt_u32_e64 s4, v0
	s_cbranch_execz .LBB10_146
; %bb.145:
	s_lshl_b64 s[2:3], s[2:3], 3
	s_delay_alu instid0(SALU_CYCLE_1)
	s_add_nc_u64 s[2:3], s[16:17], s[2:3]
	global_load_b64 v[2:3], v0, s[2:3] scale_offset
.LBB10_146:
	s_wait_xcnt 0x0
	s_or_b32 exec_lo, exec_lo, s5
	v_cmp_ne_u32_e32 vcc_lo, 31, v1
	v_and_b32_e32 v6, 0xe0, v0
	s_min_u32 s2, s4, 0x100
	s_mov_b32 s3, exec_lo
	v_add_nc_u32_e32 v7, 1, v1
	v_add_co_ci_u32_e64 v4, null, 0, v1, vcc_lo
	v_sub_nc_u32_e64 v6, s2, v6 clamp
	v_cmp_gt_u32_e32 vcc_lo, 30, v1
	s_delay_alu instid0(VALU_DEP_3) | instskip(SKIP_1) | instid1(VALU_DEP_4)
	v_lshlrev_b32_e32 v4, 2, v4
	v_cndmask_b32_e64 v8, 0, 2, vcc_lo
	v_cmp_lt_u32_e32 vcc_lo, v7, v6
	s_wait_loadcnt 0x0
	ds_bpermute_b32 v5, v4, v2
	ds_bpermute_b32 v4, v4, v3
	v_add_lshl_u32 v7, v8, v1, 2
	s_wait_dscnt 0x0
	v_max_i32_e32 v4, v3, v4
	s_delay_alu instid0(VALU_DEP_1) | instskip(NEXT) | instid1(VALU_DEP_1)
	v_dual_cndmask_b32 v3, v3, v4, vcc_lo :: v_dual_min_i32 v5, v5, v2
	v_cndmask_b32_e32 v2, v2, v5, vcc_lo
	v_cmp_gt_u32_e32 vcc_lo, 28, v1
	ds_bpermute_b32 v5, v7, v3
	ds_bpermute_b32 v4, v7, v2
	v_add_nc_u32_e32 v7, 2, v1
	v_cndmask_b32_e64 v8, 0, 4, vcc_lo
	s_wait_dscnt 0x0
	v_min_i32_e32 v4, v4, v2
	s_delay_alu instid0(VALU_DEP_3) | instskip(SKIP_2) | instid1(VALU_DEP_4)
	v_cmp_lt_u32_e32 vcc_lo, v7, v6
	v_max_i32_e32 v5, v3, v5
	v_add_lshl_u32 v7, v8, v1, 2
	v_cndmask_b32_e32 v2, v2, v4, vcc_lo
	ds_bpermute_b32 v4, v7, v2
	v_cndmask_b32_e32 v3, v3, v5, vcc_lo
	v_cmp_gt_u32_e32 vcc_lo, 24, v1
	v_cndmask_b32_e64 v8, 0, 8, vcc_lo
	s_wait_dscnt 0x0
	v_min_i32_e32 v4, v4, v2
	ds_bpermute_b32 v5, v7, v3
	v_add_nc_u32_e32 v7, 4, v1
	s_delay_alu instid0(VALU_DEP_1)
	v_cmp_lt_u32_e32 vcc_lo, v7, v6
	v_add_lshl_u32 v7, v8, v1, 2
	v_dual_add_nc_u32 v8, 8, v1 :: v_dual_cndmask_b32 v2, v2, v4, vcc_lo
	v_lshlrev_b32_e32 v4, 2, v1
	s_wait_dscnt 0x0
	v_max_i32_e32 v5, v3, v5
	s_delay_alu instid0(VALU_DEP_1)
	v_cndmask_b32_e32 v3, v3, v5, vcc_lo
	ds_bpermute_b32 v5, v7, v2
	v_cmp_lt_u32_e32 vcc_lo, v8, v6
	s_wait_dscnt 0x0
	v_min_i32_e32 v5, v5, v2
	ds_bpermute_b32 v7, v7, v3
	v_dual_cndmask_b32 v2, v2, v5, vcc_lo :: v_dual_bitop2_b32 v8, 64, v4 bitop3:0x54
	s_wait_dscnt 0x0
	v_max_i32_e32 v7, v3, v7
	s_delay_alu instid0(VALU_DEP_1) | instskip(SKIP_4) | instid1(VALU_DEP_1)
	v_cndmask_b32_e32 v3, v3, v7, vcc_lo
	ds_bpermute_b32 v7, v8, v2
	ds_bpermute_b32 v5, v8, v3
	s_wait_dscnt 0x1
	v_dual_add_nc_u32 v8, 16, v1 :: v_dual_min_i32 v7, v7, v2
	v_cmp_lt_u32_e32 vcc_lo, v8, v6
	s_wait_dscnt 0x0
	s_delay_alu instid0(VALU_DEP_2) | instskip(NEXT) | instid1(VALU_DEP_1)
	v_dual_cndmask_b32 v2, v2, v7 :: v_dual_max_i32 v5, v3, v5
	v_cndmask_b32_e32 v3, v3, v5, vcc_lo
	v_cmpx_eq_u32_e32 0, v1
; %bb.147:
	v_lshrrev_b32_e32 v5, 2, v0
	s_delay_alu instid0(VALU_DEP_1)
	v_and_b32_e32 v5, 56, v5
	ds_store_b64 v5, v[2:3]
; %bb.148:
	s_or_b32 exec_lo, exec_lo, s3
	s_delay_alu instid0(SALU_CYCLE_1)
	s_mov_b32 s3, exec_lo
	s_wait_dscnt 0x0
	s_barrier_signal -1
	s_barrier_wait -1
	v_cmpx_gt_u32_e32 8, v0
	s_cbranch_execz .LBB10_150
; %bb.149:
	v_dual_lshlrev_b32 v2, 3, v1 :: v_dual_bitop2_b32 v5, 7, v1 bitop3:0x40
	s_add_co_i32 s2, s2, 31
	s_delay_alu instid0(SALU_CYCLE_1)
	s_lshr_b32 s2, s2, 5
	ds_load_b64 v[2:3], v2
	v_cmp_ne_u32_e32 vcc_lo, 7, v5
	v_add_nc_u32_e32 v8, 1, v5
	v_add_co_ci_u32_e64 v6, null, 0, v1, vcc_lo
	v_cmp_gt_u32_e32 vcc_lo, 6, v5
	s_delay_alu instid0(VALU_DEP_2) | instskip(SKIP_2) | instid1(VALU_DEP_2)
	v_lshlrev_b32_e32 v6, 2, v6
	v_cndmask_b32_e64 v9, 0, 2, vcc_lo
	v_cmp_gt_u32_e32 vcc_lo, s2, v8
	v_add_lshl_u32 v1, v9, v1, 2
	s_wait_dscnt 0x0
	ds_bpermute_b32 v7, v6, v2
	ds_bpermute_b32 v6, v6, v3
	s_wait_dscnt 0x1
	v_min_i32_e32 v7, v7, v2
	s_wait_dscnt 0x0
	s_delay_alu instid0(VALU_DEP_1) | instskip(NEXT) | instid1(VALU_DEP_1)
	v_dual_cndmask_b32 v2, v2, v7, vcc_lo :: v_dual_max_i32 v6, v3, v6
	v_dual_cndmask_b32 v3, v3, v6, vcc_lo :: v_dual_add_nc_u32 v7, 2, v5
	v_add_nc_u32_e32 v5, 4, v5
	ds_bpermute_b32 v6, v1, v2
	ds_bpermute_b32 v1, v1, v3
	v_cmp_gt_u32_e32 vcc_lo, s2, v7
	s_wait_dscnt 0x0
	v_max_i32_e32 v1, v3, v1
	s_delay_alu instid0(VALU_DEP_1) | instskip(NEXT) | instid1(VALU_DEP_1)
	v_dual_cndmask_b32 v1, v3, v1 :: v_dual_min_i32 v6, v6, v2
	v_cndmask_b32_e32 v2, v2, v6, vcc_lo
	v_cmp_gt_u32_e32 vcc_lo, s2, v5
	v_or_b32_e32 v4, 16, v4
	ds_bpermute_b32 v3, v4, v1
	s_wait_dscnt 0x0
	v_max_i32_e32 v3, v1, v3
	s_delay_alu instid0(VALU_DEP_1) | instskip(SKIP_3) | instid1(VALU_DEP_1)
	v_cndmask_b32_e32 v3, v1, v3, vcc_lo
	ds_bpermute_b32 v4, v4, v2
	s_wait_dscnt 0x0
	v_min_i32_e32 v4, v4, v2
	v_cndmask_b32_e32 v2, v2, v4, vcc_lo
.LBB10_150:
	s_or_b32 exec_lo, exec_lo, s3
	v_cmp_eq_u32_e64 s2, 0, v0
	s_and_saveexec_b32 s3, s2
	s_cbranch_execnz .LBB10_141
	s_branch .LBB10_142
	.section	.rodata,"a",@progbits
	.p2align	6, 0x0
	.amdhsa_kernel _ZN7rocprim17ROCPRIM_400000_NS6detail17trampoline_kernelINS0_14default_configENS1_22reduce_config_selectorI11minmax_pairIiEEEZNS1_11reduce_implILb1ES3_PS6_S9_S6_16minmax_binary_opIiEEE10hipError_tPvRmT1_T2_T3_mT4_P12ihipStream_tbEUlT_E1_NS1_11comp_targetILNS1_3genE0ELNS1_11target_archE4294967295ELNS1_3gpuE0ELNS1_3repE0EEENS1_30default_config_static_selectorELNS0_4arch9wavefront6targetE0EEEvSF_
		.amdhsa_group_segment_fixed_size 384
		.amdhsa_private_segment_fixed_size 0
		.amdhsa_kernarg_size 48
		.amdhsa_user_sgpr_count 2
		.amdhsa_user_sgpr_dispatch_ptr 0
		.amdhsa_user_sgpr_queue_ptr 0
		.amdhsa_user_sgpr_kernarg_segment_ptr 1
		.amdhsa_user_sgpr_dispatch_id 0
		.amdhsa_user_sgpr_kernarg_preload_length 0
		.amdhsa_user_sgpr_kernarg_preload_offset 0
		.amdhsa_user_sgpr_private_segment_size 0
		.amdhsa_wavefront_size32 1
		.amdhsa_uses_dynamic_stack 0
		.amdhsa_enable_private_segment 0
		.amdhsa_system_sgpr_workgroup_id_x 1
		.amdhsa_system_sgpr_workgroup_id_y 0
		.amdhsa_system_sgpr_workgroup_id_z 0
		.amdhsa_system_sgpr_workgroup_info 0
		.amdhsa_system_vgpr_workitem_id 0
		.amdhsa_next_free_vgpr 34
		.amdhsa_next_free_sgpr 28
		.amdhsa_named_barrier_count 0
		.amdhsa_reserve_vcc 1
		.amdhsa_float_round_mode_32 0
		.amdhsa_float_round_mode_16_64 0
		.amdhsa_float_denorm_mode_32 3
		.amdhsa_float_denorm_mode_16_64 3
		.amdhsa_fp16_overflow 0
		.amdhsa_memory_ordered 1
		.amdhsa_forward_progress 1
		.amdhsa_inst_pref_size 73
		.amdhsa_round_robin_scheduling 0
		.amdhsa_exception_fp_ieee_invalid_op 0
		.amdhsa_exception_fp_denorm_src 0
		.amdhsa_exception_fp_ieee_div_zero 0
		.amdhsa_exception_fp_ieee_overflow 0
		.amdhsa_exception_fp_ieee_underflow 0
		.amdhsa_exception_fp_ieee_inexact 0
		.amdhsa_exception_int_div_zero 0
	.end_amdhsa_kernel
	.section	.text._ZN7rocprim17ROCPRIM_400000_NS6detail17trampoline_kernelINS0_14default_configENS1_22reduce_config_selectorI11minmax_pairIiEEEZNS1_11reduce_implILb1ES3_PS6_S9_S6_16minmax_binary_opIiEEE10hipError_tPvRmT1_T2_T3_mT4_P12ihipStream_tbEUlT_E1_NS1_11comp_targetILNS1_3genE0ELNS1_11target_archE4294967295ELNS1_3gpuE0ELNS1_3repE0EEENS1_30default_config_static_selectorELNS0_4arch9wavefront6targetE0EEEvSF_,"axG",@progbits,_ZN7rocprim17ROCPRIM_400000_NS6detail17trampoline_kernelINS0_14default_configENS1_22reduce_config_selectorI11minmax_pairIiEEEZNS1_11reduce_implILb1ES3_PS6_S9_S6_16minmax_binary_opIiEEE10hipError_tPvRmT1_T2_T3_mT4_P12ihipStream_tbEUlT_E1_NS1_11comp_targetILNS1_3genE0ELNS1_11target_archE4294967295ELNS1_3gpuE0ELNS1_3repE0EEENS1_30default_config_static_selectorELNS0_4arch9wavefront6targetE0EEEvSF_,comdat
.Lfunc_end10:
	.size	_ZN7rocprim17ROCPRIM_400000_NS6detail17trampoline_kernelINS0_14default_configENS1_22reduce_config_selectorI11minmax_pairIiEEEZNS1_11reduce_implILb1ES3_PS6_S9_S6_16minmax_binary_opIiEEE10hipError_tPvRmT1_T2_T3_mT4_P12ihipStream_tbEUlT_E1_NS1_11comp_targetILNS1_3genE0ELNS1_11target_archE4294967295ELNS1_3gpuE0ELNS1_3repE0EEENS1_30default_config_static_selectorELNS0_4arch9wavefront6targetE0EEEvSF_, .Lfunc_end10-_ZN7rocprim17ROCPRIM_400000_NS6detail17trampoline_kernelINS0_14default_configENS1_22reduce_config_selectorI11minmax_pairIiEEEZNS1_11reduce_implILb1ES3_PS6_S9_S6_16minmax_binary_opIiEEE10hipError_tPvRmT1_T2_T3_mT4_P12ihipStream_tbEUlT_E1_NS1_11comp_targetILNS1_3genE0ELNS1_11target_archE4294967295ELNS1_3gpuE0ELNS1_3repE0EEENS1_30default_config_static_selectorELNS0_4arch9wavefront6targetE0EEEvSF_
                                        ; -- End function
	.set _ZN7rocprim17ROCPRIM_400000_NS6detail17trampoline_kernelINS0_14default_configENS1_22reduce_config_selectorI11minmax_pairIiEEEZNS1_11reduce_implILb1ES3_PS6_S9_S6_16minmax_binary_opIiEEE10hipError_tPvRmT1_T2_T3_mT4_P12ihipStream_tbEUlT_E1_NS1_11comp_targetILNS1_3genE0ELNS1_11target_archE4294967295ELNS1_3gpuE0ELNS1_3repE0EEENS1_30default_config_static_selectorELNS0_4arch9wavefront6targetE0EEEvSF_.num_vgpr, 34
	.set _ZN7rocprim17ROCPRIM_400000_NS6detail17trampoline_kernelINS0_14default_configENS1_22reduce_config_selectorI11minmax_pairIiEEEZNS1_11reduce_implILb1ES3_PS6_S9_S6_16minmax_binary_opIiEEE10hipError_tPvRmT1_T2_T3_mT4_P12ihipStream_tbEUlT_E1_NS1_11comp_targetILNS1_3genE0ELNS1_11target_archE4294967295ELNS1_3gpuE0ELNS1_3repE0EEENS1_30default_config_static_selectorELNS0_4arch9wavefront6targetE0EEEvSF_.num_agpr, 0
	.set _ZN7rocprim17ROCPRIM_400000_NS6detail17trampoline_kernelINS0_14default_configENS1_22reduce_config_selectorI11minmax_pairIiEEEZNS1_11reduce_implILb1ES3_PS6_S9_S6_16minmax_binary_opIiEEE10hipError_tPvRmT1_T2_T3_mT4_P12ihipStream_tbEUlT_E1_NS1_11comp_targetILNS1_3genE0ELNS1_11target_archE4294967295ELNS1_3gpuE0ELNS1_3repE0EEENS1_30default_config_static_selectorELNS0_4arch9wavefront6targetE0EEEvSF_.numbered_sgpr, 28
	.set _ZN7rocprim17ROCPRIM_400000_NS6detail17trampoline_kernelINS0_14default_configENS1_22reduce_config_selectorI11minmax_pairIiEEEZNS1_11reduce_implILb1ES3_PS6_S9_S6_16minmax_binary_opIiEEE10hipError_tPvRmT1_T2_T3_mT4_P12ihipStream_tbEUlT_E1_NS1_11comp_targetILNS1_3genE0ELNS1_11target_archE4294967295ELNS1_3gpuE0ELNS1_3repE0EEENS1_30default_config_static_selectorELNS0_4arch9wavefront6targetE0EEEvSF_.num_named_barrier, 0
	.set _ZN7rocprim17ROCPRIM_400000_NS6detail17trampoline_kernelINS0_14default_configENS1_22reduce_config_selectorI11minmax_pairIiEEEZNS1_11reduce_implILb1ES3_PS6_S9_S6_16minmax_binary_opIiEEE10hipError_tPvRmT1_T2_T3_mT4_P12ihipStream_tbEUlT_E1_NS1_11comp_targetILNS1_3genE0ELNS1_11target_archE4294967295ELNS1_3gpuE0ELNS1_3repE0EEENS1_30default_config_static_selectorELNS0_4arch9wavefront6targetE0EEEvSF_.private_seg_size, 0
	.set _ZN7rocprim17ROCPRIM_400000_NS6detail17trampoline_kernelINS0_14default_configENS1_22reduce_config_selectorI11minmax_pairIiEEEZNS1_11reduce_implILb1ES3_PS6_S9_S6_16minmax_binary_opIiEEE10hipError_tPvRmT1_T2_T3_mT4_P12ihipStream_tbEUlT_E1_NS1_11comp_targetILNS1_3genE0ELNS1_11target_archE4294967295ELNS1_3gpuE0ELNS1_3repE0EEENS1_30default_config_static_selectorELNS0_4arch9wavefront6targetE0EEEvSF_.uses_vcc, 1
	.set _ZN7rocprim17ROCPRIM_400000_NS6detail17trampoline_kernelINS0_14default_configENS1_22reduce_config_selectorI11minmax_pairIiEEEZNS1_11reduce_implILb1ES3_PS6_S9_S6_16minmax_binary_opIiEEE10hipError_tPvRmT1_T2_T3_mT4_P12ihipStream_tbEUlT_E1_NS1_11comp_targetILNS1_3genE0ELNS1_11target_archE4294967295ELNS1_3gpuE0ELNS1_3repE0EEENS1_30default_config_static_selectorELNS0_4arch9wavefront6targetE0EEEvSF_.uses_flat_scratch, 0
	.set _ZN7rocprim17ROCPRIM_400000_NS6detail17trampoline_kernelINS0_14default_configENS1_22reduce_config_selectorI11minmax_pairIiEEEZNS1_11reduce_implILb1ES3_PS6_S9_S6_16minmax_binary_opIiEEE10hipError_tPvRmT1_T2_T3_mT4_P12ihipStream_tbEUlT_E1_NS1_11comp_targetILNS1_3genE0ELNS1_11target_archE4294967295ELNS1_3gpuE0ELNS1_3repE0EEENS1_30default_config_static_selectorELNS0_4arch9wavefront6targetE0EEEvSF_.has_dyn_sized_stack, 0
	.set _ZN7rocprim17ROCPRIM_400000_NS6detail17trampoline_kernelINS0_14default_configENS1_22reduce_config_selectorI11minmax_pairIiEEEZNS1_11reduce_implILb1ES3_PS6_S9_S6_16minmax_binary_opIiEEE10hipError_tPvRmT1_T2_T3_mT4_P12ihipStream_tbEUlT_E1_NS1_11comp_targetILNS1_3genE0ELNS1_11target_archE4294967295ELNS1_3gpuE0ELNS1_3repE0EEENS1_30default_config_static_selectorELNS0_4arch9wavefront6targetE0EEEvSF_.has_recursion, 0
	.set _ZN7rocprim17ROCPRIM_400000_NS6detail17trampoline_kernelINS0_14default_configENS1_22reduce_config_selectorI11minmax_pairIiEEEZNS1_11reduce_implILb1ES3_PS6_S9_S6_16minmax_binary_opIiEEE10hipError_tPvRmT1_T2_T3_mT4_P12ihipStream_tbEUlT_E1_NS1_11comp_targetILNS1_3genE0ELNS1_11target_archE4294967295ELNS1_3gpuE0ELNS1_3repE0EEENS1_30default_config_static_selectorELNS0_4arch9wavefront6targetE0EEEvSF_.has_indirect_call, 0
	.section	.AMDGPU.csdata,"",@progbits
; Kernel info:
; codeLenInByte = 9304
; TotalNumSgprs: 30
; NumVgprs: 34
; ScratchSize: 0
; MemoryBound: 0
; FloatMode: 240
; IeeeMode: 1
; LDSByteSize: 384 bytes/workgroup (compile time only)
; SGPRBlocks: 0
; VGPRBlocks: 2
; NumSGPRsForWavesPerEU: 30
; NumVGPRsForWavesPerEU: 34
; NamedBarCnt: 0
; Occupancy: 16
; WaveLimiterHint : 1
; COMPUTE_PGM_RSRC2:SCRATCH_EN: 0
; COMPUTE_PGM_RSRC2:USER_SGPR: 2
; COMPUTE_PGM_RSRC2:TRAP_HANDLER: 0
; COMPUTE_PGM_RSRC2:TGID_X_EN: 1
; COMPUTE_PGM_RSRC2:TGID_Y_EN: 0
; COMPUTE_PGM_RSRC2:TGID_Z_EN: 0
; COMPUTE_PGM_RSRC2:TIDIG_COMP_CNT: 0
	.section	.text._ZN7rocprim17ROCPRIM_400000_NS6detail17trampoline_kernelINS0_14default_configENS1_22reduce_config_selectorI11minmax_pairIiEEEZNS1_11reduce_implILb1ES3_PS6_S9_S6_16minmax_binary_opIiEEE10hipError_tPvRmT1_T2_T3_mT4_P12ihipStream_tbEUlT_E1_NS1_11comp_targetILNS1_3genE5ELNS1_11target_archE942ELNS1_3gpuE9ELNS1_3repE0EEENS1_30default_config_static_selectorELNS0_4arch9wavefront6targetE0EEEvSF_,"axG",@progbits,_ZN7rocprim17ROCPRIM_400000_NS6detail17trampoline_kernelINS0_14default_configENS1_22reduce_config_selectorI11minmax_pairIiEEEZNS1_11reduce_implILb1ES3_PS6_S9_S6_16minmax_binary_opIiEEE10hipError_tPvRmT1_T2_T3_mT4_P12ihipStream_tbEUlT_E1_NS1_11comp_targetILNS1_3genE5ELNS1_11target_archE942ELNS1_3gpuE9ELNS1_3repE0EEENS1_30default_config_static_selectorELNS0_4arch9wavefront6targetE0EEEvSF_,comdat
	.protected	_ZN7rocprim17ROCPRIM_400000_NS6detail17trampoline_kernelINS0_14default_configENS1_22reduce_config_selectorI11minmax_pairIiEEEZNS1_11reduce_implILb1ES3_PS6_S9_S6_16minmax_binary_opIiEEE10hipError_tPvRmT1_T2_T3_mT4_P12ihipStream_tbEUlT_E1_NS1_11comp_targetILNS1_3genE5ELNS1_11target_archE942ELNS1_3gpuE9ELNS1_3repE0EEENS1_30default_config_static_selectorELNS0_4arch9wavefront6targetE0EEEvSF_ ; -- Begin function _ZN7rocprim17ROCPRIM_400000_NS6detail17trampoline_kernelINS0_14default_configENS1_22reduce_config_selectorI11minmax_pairIiEEEZNS1_11reduce_implILb1ES3_PS6_S9_S6_16minmax_binary_opIiEEE10hipError_tPvRmT1_T2_T3_mT4_P12ihipStream_tbEUlT_E1_NS1_11comp_targetILNS1_3genE5ELNS1_11target_archE942ELNS1_3gpuE9ELNS1_3repE0EEENS1_30default_config_static_selectorELNS0_4arch9wavefront6targetE0EEEvSF_
	.globl	_ZN7rocprim17ROCPRIM_400000_NS6detail17trampoline_kernelINS0_14default_configENS1_22reduce_config_selectorI11minmax_pairIiEEEZNS1_11reduce_implILb1ES3_PS6_S9_S6_16minmax_binary_opIiEEE10hipError_tPvRmT1_T2_T3_mT4_P12ihipStream_tbEUlT_E1_NS1_11comp_targetILNS1_3genE5ELNS1_11target_archE942ELNS1_3gpuE9ELNS1_3repE0EEENS1_30default_config_static_selectorELNS0_4arch9wavefront6targetE0EEEvSF_
	.p2align	8
	.type	_ZN7rocprim17ROCPRIM_400000_NS6detail17trampoline_kernelINS0_14default_configENS1_22reduce_config_selectorI11minmax_pairIiEEEZNS1_11reduce_implILb1ES3_PS6_S9_S6_16minmax_binary_opIiEEE10hipError_tPvRmT1_T2_T3_mT4_P12ihipStream_tbEUlT_E1_NS1_11comp_targetILNS1_3genE5ELNS1_11target_archE942ELNS1_3gpuE9ELNS1_3repE0EEENS1_30default_config_static_selectorELNS0_4arch9wavefront6targetE0EEEvSF_,@function
_ZN7rocprim17ROCPRIM_400000_NS6detail17trampoline_kernelINS0_14default_configENS1_22reduce_config_selectorI11minmax_pairIiEEEZNS1_11reduce_implILb1ES3_PS6_S9_S6_16minmax_binary_opIiEEE10hipError_tPvRmT1_T2_T3_mT4_P12ihipStream_tbEUlT_E1_NS1_11comp_targetILNS1_3genE5ELNS1_11target_archE942ELNS1_3gpuE9ELNS1_3repE0EEENS1_30default_config_static_selectorELNS0_4arch9wavefront6targetE0EEEvSF_: ; @_ZN7rocprim17ROCPRIM_400000_NS6detail17trampoline_kernelINS0_14default_configENS1_22reduce_config_selectorI11minmax_pairIiEEEZNS1_11reduce_implILb1ES3_PS6_S9_S6_16minmax_binary_opIiEEE10hipError_tPvRmT1_T2_T3_mT4_P12ihipStream_tbEUlT_E1_NS1_11comp_targetILNS1_3genE5ELNS1_11target_archE942ELNS1_3gpuE9ELNS1_3repE0EEENS1_30default_config_static_selectorELNS0_4arch9wavefront6targetE0EEEvSF_
; %bb.0:
	.section	.rodata,"a",@progbits
	.p2align	6, 0x0
	.amdhsa_kernel _ZN7rocprim17ROCPRIM_400000_NS6detail17trampoline_kernelINS0_14default_configENS1_22reduce_config_selectorI11minmax_pairIiEEEZNS1_11reduce_implILb1ES3_PS6_S9_S6_16minmax_binary_opIiEEE10hipError_tPvRmT1_T2_T3_mT4_P12ihipStream_tbEUlT_E1_NS1_11comp_targetILNS1_3genE5ELNS1_11target_archE942ELNS1_3gpuE9ELNS1_3repE0EEENS1_30default_config_static_selectorELNS0_4arch9wavefront6targetE0EEEvSF_
		.amdhsa_group_segment_fixed_size 0
		.amdhsa_private_segment_fixed_size 0
		.amdhsa_kernarg_size 48
		.amdhsa_user_sgpr_count 2
		.amdhsa_user_sgpr_dispatch_ptr 0
		.amdhsa_user_sgpr_queue_ptr 0
		.amdhsa_user_sgpr_kernarg_segment_ptr 1
		.amdhsa_user_sgpr_dispatch_id 0
		.amdhsa_user_sgpr_kernarg_preload_length 0
		.amdhsa_user_sgpr_kernarg_preload_offset 0
		.amdhsa_user_sgpr_private_segment_size 0
		.amdhsa_wavefront_size32 1
		.amdhsa_uses_dynamic_stack 0
		.amdhsa_enable_private_segment 0
		.amdhsa_system_sgpr_workgroup_id_x 1
		.amdhsa_system_sgpr_workgroup_id_y 0
		.amdhsa_system_sgpr_workgroup_id_z 0
		.amdhsa_system_sgpr_workgroup_info 0
		.amdhsa_system_vgpr_workitem_id 0
		.amdhsa_next_free_vgpr 1
		.amdhsa_next_free_sgpr 1
		.amdhsa_named_barrier_count 0
		.amdhsa_reserve_vcc 0
		.amdhsa_float_round_mode_32 0
		.amdhsa_float_round_mode_16_64 0
		.amdhsa_float_denorm_mode_32 3
		.amdhsa_float_denorm_mode_16_64 3
		.amdhsa_fp16_overflow 0
		.amdhsa_memory_ordered 1
		.amdhsa_forward_progress 1
		.amdhsa_inst_pref_size 0
		.amdhsa_round_robin_scheduling 0
		.amdhsa_exception_fp_ieee_invalid_op 0
		.amdhsa_exception_fp_denorm_src 0
		.amdhsa_exception_fp_ieee_div_zero 0
		.amdhsa_exception_fp_ieee_overflow 0
		.amdhsa_exception_fp_ieee_underflow 0
		.amdhsa_exception_fp_ieee_inexact 0
		.amdhsa_exception_int_div_zero 0
	.end_amdhsa_kernel
	.section	.text._ZN7rocprim17ROCPRIM_400000_NS6detail17trampoline_kernelINS0_14default_configENS1_22reduce_config_selectorI11minmax_pairIiEEEZNS1_11reduce_implILb1ES3_PS6_S9_S6_16minmax_binary_opIiEEE10hipError_tPvRmT1_T2_T3_mT4_P12ihipStream_tbEUlT_E1_NS1_11comp_targetILNS1_3genE5ELNS1_11target_archE942ELNS1_3gpuE9ELNS1_3repE0EEENS1_30default_config_static_selectorELNS0_4arch9wavefront6targetE0EEEvSF_,"axG",@progbits,_ZN7rocprim17ROCPRIM_400000_NS6detail17trampoline_kernelINS0_14default_configENS1_22reduce_config_selectorI11minmax_pairIiEEEZNS1_11reduce_implILb1ES3_PS6_S9_S6_16minmax_binary_opIiEEE10hipError_tPvRmT1_T2_T3_mT4_P12ihipStream_tbEUlT_E1_NS1_11comp_targetILNS1_3genE5ELNS1_11target_archE942ELNS1_3gpuE9ELNS1_3repE0EEENS1_30default_config_static_selectorELNS0_4arch9wavefront6targetE0EEEvSF_,comdat
.Lfunc_end11:
	.size	_ZN7rocprim17ROCPRIM_400000_NS6detail17trampoline_kernelINS0_14default_configENS1_22reduce_config_selectorI11minmax_pairIiEEEZNS1_11reduce_implILb1ES3_PS6_S9_S6_16minmax_binary_opIiEEE10hipError_tPvRmT1_T2_T3_mT4_P12ihipStream_tbEUlT_E1_NS1_11comp_targetILNS1_3genE5ELNS1_11target_archE942ELNS1_3gpuE9ELNS1_3repE0EEENS1_30default_config_static_selectorELNS0_4arch9wavefront6targetE0EEEvSF_, .Lfunc_end11-_ZN7rocprim17ROCPRIM_400000_NS6detail17trampoline_kernelINS0_14default_configENS1_22reduce_config_selectorI11minmax_pairIiEEEZNS1_11reduce_implILb1ES3_PS6_S9_S6_16minmax_binary_opIiEEE10hipError_tPvRmT1_T2_T3_mT4_P12ihipStream_tbEUlT_E1_NS1_11comp_targetILNS1_3genE5ELNS1_11target_archE942ELNS1_3gpuE9ELNS1_3repE0EEENS1_30default_config_static_selectorELNS0_4arch9wavefront6targetE0EEEvSF_
                                        ; -- End function
	.set _ZN7rocprim17ROCPRIM_400000_NS6detail17trampoline_kernelINS0_14default_configENS1_22reduce_config_selectorI11minmax_pairIiEEEZNS1_11reduce_implILb1ES3_PS6_S9_S6_16minmax_binary_opIiEEE10hipError_tPvRmT1_T2_T3_mT4_P12ihipStream_tbEUlT_E1_NS1_11comp_targetILNS1_3genE5ELNS1_11target_archE942ELNS1_3gpuE9ELNS1_3repE0EEENS1_30default_config_static_selectorELNS0_4arch9wavefront6targetE0EEEvSF_.num_vgpr, 0
	.set _ZN7rocprim17ROCPRIM_400000_NS6detail17trampoline_kernelINS0_14default_configENS1_22reduce_config_selectorI11minmax_pairIiEEEZNS1_11reduce_implILb1ES3_PS6_S9_S6_16minmax_binary_opIiEEE10hipError_tPvRmT1_T2_T3_mT4_P12ihipStream_tbEUlT_E1_NS1_11comp_targetILNS1_3genE5ELNS1_11target_archE942ELNS1_3gpuE9ELNS1_3repE0EEENS1_30default_config_static_selectorELNS0_4arch9wavefront6targetE0EEEvSF_.num_agpr, 0
	.set _ZN7rocprim17ROCPRIM_400000_NS6detail17trampoline_kernelINS0_14default_configENS1_22reduce_config_selectorI11minmax_pairIiEEEZNS1_11reduce_implILb1ES3_PS6_S9_S6_16minmax_binary_opIiEEE10hipError_tPvRmT1_T2_T3_mT4_P12ihipStream_tbEUlT_E1_NS1_11comp_targetILNS1_3genE5ELNS1_11target_archE942ELNS1_3gpuE9ELNS1_3repE0EEENS1_30default_config_static_selectorELNS0_4arch9wavefront6targetE0EEEvSF_.numbered_sgpr, 0
	.set _ZN7rocprim17ROCPRIM_400000_NS6detail17trampoline_kernelINS0_14default_configENS1_22reduce_config_selectorI11minmax_pairIiEEEZNS1_11reduce_implILb1ES3_PS6_S9_S6_16minmax_binary_opIiEEE10hipError_tPvRmT1_T2_T3_mT4_P12ihipStream_tbEUlT_E1_NS1_11comp_targetILNS1_3genE5ELNS1_11target_archE942ELNS1_3gpuE9ELNS1_3repE0EEENS1_30default_config_static_selectorELNS0_4arch9wavefront6targetE0EEEvSF_.num_named_barrier, 0
	.set _ZN7rocprim17ROCPRIM_400000_NS6detail17trampoline_kernelINS0_14default_configENS1_22reduce_config_selectorI11minmax_pairIiEEEZNS1_11reduce_implILb1ES3_PS6_S9_S6_16minmax_binary_opIiEEE10hipError_tPvRmT1_T2_T3_mT4_P12ihipStream_tbEUlT_E1_NS1_11comp_targetILNS1_3genE5ELNS1_11target_archE942ELNS1_3gpuE9ELNS1_3repE0EEENS1_30default_config_static_selectorELNS0_4arch9wavefront6targetE0EEEvSF_.private_seg_size, 0
	.set _ZN7rocprim17ROCPRIM_400000_NS6detail17trampoline_kernelINS0_14default_configENS1_22reduce_config_selectorI11minmax_pairIiEEEZNS1_11reduce_implILb1ES3_PS6_S9_S6_16minmax_binary_opIiEEE10hipError_tPvRmT1_T2_T3_mT4_P12ihipStream_tbEUlT_E1_NS1_11comp_targetILNS1_3genE5ELNS1_11target_archE942ELNS1_3gpuE9ELNS1_3repE0EEENS1_30default_config_static_selectorELNS0_4arch9wavefront6targetE0EEEvSF_.uses_vcc, 0
	.set _ZN7rocprim17ROCPRIM_400000_NS6detail17trampoline_kernelINS0_14default_configENS1_22reduce_config_selectorI11minmax_pairIiEEEZNS1_11reduce_implILb1ES3_PS6_S9_S6_16minmax_binary_opIiEEE10hipError_tPvRmT1_T2_T3_mT4_P12ihipStream_tbEUlT_E1_NS1_11comp_targetILNS1_3genE5ELNS1_11target_archE942ELNS1_3gpuE9ELNS1_3repE0EEENS1_30default_config_static_selectorELNS0_4arch9wavefront6targetE0EEEvSF_.uses_flat_scratch, 0
	.set _ZN7rocprim17ROCPRIM_400000_NS6detail17trampoline_kernelINS0_14default_configENS1_22reduce_config_selectorI11minmax_pairIiEEEZNS1_11reduce_implILb1ES3_PS6_S9_S6_16minmax_binary_opIiEEE10hipError_tPvRmT1_T2_T3_mT4_P12ihipStream_tbEUlT_E1_NS1_11comp_targetILNS1_3genE5ELNS1_11target_archE942ELNS1_3gpuE9ELNS1_3repE0EEENS1_30default_config_static_selectorELNS0_4arch9wavefront6targetE0EEEvSF_.has_dyn_sized_stack, 0
	.set _ZN7rocprim17ROCPRIM_400000_NS6detail17trampoline_kernelINS0_14default_configENS1_22reduce_config_selectorI11minmax_pairIiEEEZNS1_11reduce_implILb1ES3_PS6_S9_S6_16minmax_binary_opIiEEE10hipError_tPvRmT1_T2_T3_mT4_P12ihipStream_tbEUlT_E1_NS1_11comp_targetILNS1_3genE5ELNS1_11target_archE942ELNS1_3gpuE9ELNS1_3repE0EEENS1_30default_config_static_selectorELNS0_4arch9wavefront6targetE0EEEvSF_.has_recursion, 0
	.set _ZN7rocprim17ROCPRIM_400000_NS6detail17trampoline_kernelINS0_14default_configENS1_22reduce_config_selectorI11minmax_pairIiEEEZNS1_11reduce_implILb1ES3_PS6_S9_S6_16minmax_binary_opIiEEE10hipError_tPvRmT1_T2_T3_mT4_P12ihipStream_tbEUlT_E1_NS1_11comp_targetILNS1_3genE5ELNS1_11target_archE942ELNS1_3gpuE9ELNS1_3repE0EEENS1_30default_config_static_selectorELNS0_4arch9wavefront6targetE0EEEvSF_.has_indirect_call, 0
	.section	.AMDGPU.csdata,"",@progbits
; Kernel info:
; codeLenInByte = 0
; TotalNumSgprs: 0
; NumVgprs: 0
; ScratchSize: 0
; MemoryBound: 0
; FloatMode: 240
; IeeeMode: 1
; LDSByteSize: 0 bytes/workgroup (compile time only)
; SGPRBlocks: 0
; VGPRBlocks: 0
; NumSGPRsForWavesPerEU: 1
; NumVGPRsForWavesPerEU: 1
; NamedBarCnt: 0
; Occupancy: 16
; WaveLimiterHint : 0
; COMPUTE_PGM_RSRC2:SCRATCH_EN: 0
; COMPUTE_PGM_RSRC2:USER_SGPR: 2
; COMPUTE_PGM_RSRC2:TRAP_HANDLER: 0
; COMPUTE_PGM_RSRC2:TGID_X_EN: 1
; COMPUTE_PGM_RSRC2:TGID_Y_EN: 0
; COMPUTE_PGM_RSRC2:TGID_Z_EN: 0
; COMPUTE_PGM_RSRC2:TIDIG_COMP_CNT: 0
	.section	.text._ZN7rocprim17ROCPRIM_400000_NS6detail17trampoline_kernelINS0_14default_configENS1_22reduce_config_selectorI11minmax_pairIiEEEZNS1_11reduce_implILb1ES3_PS6_S9_S6_16minmax_binary_opIiEEE10hipError_tPvRmT1_T2_T3_mT4_P12ihipStream_tbEUlT_E1_NS1_11comp_targetILNS1_3genE4ELNS1_11target_archE910ELNS1_3gpuE8ELNS1_3repE0EEENS1_30default_config_static_selectorELNS0_4arch9wavefront6targetE0EEEvSF_,"axG",@progbits,_ZN7rocprim17ROCPRIM_400000_NS6detail17trampoline_kernelINS0_14default_configENS1_22reduce_config_selectorI11minmax_pairIiEEEZNS1_11reduce_implILb1ES3_PS6_S9_S6_16minmax_binary_opIiEEE10hipError_tPvRmT1_T2_T3_mT4_P12ihipStream_tbEUlT_E1_NS1_11comp_targetILNS1_3genE4ELNS1_11target_archE910ELNS1_3gpuE8ELNS1_3repE0EEENS1_30default_config_static_selectorELNS0_4arch9wavefront6targetE0EEEvSF_,comdat
	.protected	_ZN7rocprim17ROCPRIM_400000_NS6detail17trampoline_kernelINS0_14default_configENS1_22reduce_config_selectorI11minmax_pairIiEEEZNS1_11reduce_implILb1ES3_PS6_S9_S6_16minmax_binary_opIiEEE10hipError_tPvRmT1_T2_T3_mT4_P12ihipStream_tbEUlT_E1_NS1_11comp_targetILNS1_3genE4ELNS1_11target_archE910ELNS1_3gpuE8ELNS1_3repE0EEENS1_30default_config_static_selectorELNS0_4arch9wavefront6targetE0EEEvSF_ ; -- Begin function _ZN7rocprim17ROCPRIM_400000_NS6detail17trampoline_kernelINS0_14default_configENS1_22reduce_config_selectorI11minmax_pairIiEEEZNS1_11reduce_implILb1ES3_PS6_S9_S6_16minmax_binary_opIiEEE10hipError_tPvRmT1_T2_T3_mT4_P12ihipStream_tbEUlT_E1_NS1_11comp_targetILNS1_3genE4ELNS1_11target_archE910ELNS1_3gpuE8ELNS1_3repE0EEENS1_30default_config_static_selectorELNS0_4arch9wavefront6targetE0EEEvSF_
	.globl	_ZN7rocprim17ROCPRIM_400000_NS6detail17trampoline_kernelINS0_14default_configENS1_22reduce_config_selectorI11minmax_pairIiEEEZNS1_11reduce_implILb1ES3_PS6_S9_S6_16minmax_binary_opIiEEE10hipError_tPvRmT1_T2_T3_mT4_P12ihipStream_tbEUlT_E1_NS1_11comp_targetILNS1_3genE4ELNS1_11target_archE910ELNS1_3gpuE8ELNS1_3repE0EEENS1_30default_config_static_selectorELNS0_4arch9wavefront6targetE0EEEvSF_
	.p2align	8
	.type	_ZN7rocprim17ROCPRIM_400000_NS6detail17trampoline_kernelINS0_14default_configENS1_22reduce_config_selectorI11minmax_pairIiEEEZNS1_11reduce_implILb1ES3_PS6_S9_S6_16minmax_binary_opIiEEE10hipError_tPvRmT1_T2_T3_mT4_P12ihipStream_tbEUlT_E1_NS1_11comp_targetILNS1_3genE4ELNS1_11target_archE910ELNS1_3gpuE8ELNS1_3repE0EEENS1_30default_config_static_selectorELNS0_4arch9wavefront6targetE0EEEvSF_,@function
_ZN7rocprim17ROCPRIM_400000_NS6detail17trampoline_kernelINS0_14default_configENS1_22reduce_config_selectorI11minmax_pairIiEEEZNS1_11reduce_implILb1ES3_PS6_S9_S6_16minmax_binary_opIiEEE10hipError_tPvRmT1_T2_T3_mT4_P12ihipStream_tbEUlT_E1_NS1_11comp_targetILNS1_3genE4ELNS1_11target_archE910ELNS1_3gpuE8ELNS1_3repE0EEENS1_30default_config_static_selectorELNS0_4arch9wavefront6targetE0EEEvSF_: ; @_ZN7rocprim17ROCPRIM_400000_NS6detail17trampoline_kernelINS0_14default_configENS1_22reduce_config_selectorI11minmax_pairIiEEEZNS1_11reduce_implILb1ES3_PS6_S9_S6_16minmax_binary_opIiEEE10hipError_tPvRmT1_T2_T3_mT4_P12ihipStream_tbEUlT_E1_NS1_11comp_targetILNS1_3genE4ELNS1_11target_archE910ELNS1_3gpuE8ELNS1_3repE0EEENS1_30default_config_static_selectorELNS0_4arch9wavefront6targetE0EEEvSF_
; %bb.0:
	.section	.rodata,"a",@progbits
	.p2align	6, 0x0
	.amdhsa_kernel _ZN7rocprim17ROCPRIM_400000_NS6detail17trampoline_kernelINS0_14default_configENS1_22reduce_config_selectorI11minmax_pairIiEEEZNS1_11reduce_implILb1ES3_PS6_S9_S6_16minmax_binary_opIiEEE10hipError_tPvRmT1_T2_T3_mT4_P12ihipStream_tbEUlT_E1_NS1_11comp_targetILNS1_3genE4ELNS1_11target_archE910ELNS1_3gpuE8ELNS1_3repE0EEENS1_30default_config_static_selectorELNS0_4arch9wavefront6targetE0EEEvSF_
		.amdhsa_group_segment_fixed_size 0
		.amdhsa_private_segment_fixed_size 0
		.amdhsa_kernarg_size 48
		.amdhsa_user_sgpr_count 2
		.amdhsa_user_sgpr_dispatch_ptr 0
		.amdhsa_user_sgpr_queue_ptr 0
		.amdhsa_user_sgpr_kernarg_segment_ptr 1
		.amdhsa_user_sgpr_dispatch_id 0
		.amdhsa_user_sgpr_kernarg_preload_length 0
		.amdhsa_user_sgpr_kernarg_preload_offset 0
		.amdhsa_user_sgpr_private_segment_size 0
		.amdhsa_wavefront_size32 1
		.amdhsa_uses_dynamic_stack 0
		.amdhsa_enable_private_segment 0
		.amdhsa_system_sgpr_workgroup_id_x 1
		.amdhsa_system_sgpr_workgroup_id_y 0
		.amdhsa_system_sgpr_workgroup_id_z 0
		.amdhsa_system_sgpr_workgroup_info 0
		.amdhsa_system_vgpr_workitem_id 0
		.amdhsa_next_free_vgpr 1
		.amdhsa_next_free_sgpr 1
		.amdhsa_named_barrier_count 0
		.amdhsa_reserve_vcc 0
		.amdhsa_float_round_mode_32 0
		.amdhsa_float_round_mode_16_64 0
		.amdhsa_float_denorm_mode_32 3
		.amdhsa_float_denorm_mode_16_64 3
		.amdhsa_fp16_overflow 0
		.amdhsa_memory_ordered 1
		.amdhsa_forward_progress 1
		.amdhsa_inst_pref_size 0
		.amdhsa_round_robin_scheduling 0
		.amdhsa_exception_fp_ieee_invalid_op 0
		.amdhsa_exception_fp_denorm_src 0
		.amdhsa_exception_fp_ieee_div_zero 0
		.amdhsa_exception_fp_ieee_overflow 0
		.amdhsa_exception_fp_ieee_underflow 0
		.amdhsa_exception_fp_ieee_inexact 0
		.amdhsa_exception_int_div_zero 0
	.end_amdhsa_kernel
	.section	.text._ZN7rocprim17ROCPRIM_400000_NS6detail17trampoline_kernelINS0_14default_configENS1_22reduce_config_selectorI11minmax_pairIiEEEZNS1_11reduce_implILb1ES3_PS6_S9_S6_16minmax_binary_opIiEEE10hipError_tPvRmT1_T2_T3_mT4_P12ihipStream_tbEUlT_E1_NS1_11comp_targetILNS1_3genE4ELNS1_11target_archE910ELNS1_3gpuE8ELNS1_3repE0EEENS1_30default_config_static_selectorELNS0_4arch9wavefront6targetE0EEEvSF_,"axG",@progbits,_ZN7rocprim17ROCPRIM_400000_NS6detail17trampoline_kernelINS0_14default_configENS1_22reduce_config_selectorI11minmax_pairIiEEEZNS1_11reduce_implILb1ES3_PS6_S9_S6_16minmax_binary_opIiEEE10hipError_tPvRmT1_T2_T3_mT4_P12ihipStream_tbEUlT_E1_NS1_11comp_targetILNS1_3genE4ELNS1_11target_archE910ELNS1_3gpuE8ELNS1_3repE0EEENS1_30default_config_static_selectorELNS0_4arch9wavefront6targetE0EEEvSF_,comdat
.Lfunc_end12:
	.size	_ZN7rocprim17ROCPRIM_400000_NS6detail17trampoline_kernelINS0_14default_configENS1_22reduce_config_selectorI11minmax_pairIiEEEZNS1_11reduce_implILb1ES3_PS6_S9_S6_16minmax_binary_opIiEEE10hipError_tPvRmT1_T2_T3_mT4_P12ihipStream_tbEUlT_E1_NS1_11comp_targetILNS1_3genE4ELNS1_11target_archE910ELNS1_3gpuE8ELNS1_3repE0EEENS1_30default_config_static_selectorELNS0_4arch9wavefront6targetE0EEEvSF_, .Lfunc_end12-_ZN7rocprim17ROCPRIM_400000_NS6detail17trampoline_kernelINS0_14default_configENS1_22reduce_config_selectorI11minmax_pairIiEEEZNS1_11reduce_implILb1ES3_PS6_S9_S6_16minmax_binary_opIiEEE10hipError_tPvRmT1_T2_T3_mT4_P12ihipStream_tbEUlT_E1_NS1_11comp_targetILNS1_3genE4ELNS1_11target_archE910ELNS1_3gpuE8ELNS1_3repE0EEENS1_30default_config_static_selectorELNS0_4arch9wavefront6targetE0EEEvSF_
                                        ; -- End function
	.set _ZN7rocprim17ROCPRIM_400000_NS6detail17trampoline_kernelINS0_14default_configENS1_22reduce_config_selectorI11minmax_pairIiEEEZNS1_11reduce_implILb1ES3_PS6_S9_S6_16minmax_binary_opIiEEE10hipError_tPvRmT1_T2_T3_mT4_P12ihipStream_tbEUlT_E1_NS1_11comp_targetILNS1_3genE4ELNS1_11target_archE910ELNS1_3gpuE8ELNS1_3repE0EEENS1_30default_config_static_selectorELNS0_4arch9wavefront6targetE0EEEvSF_.num_vgpr, 0
	.set _ZN7rocprim17ROCPRIM_400000_NS6detail17trampoline_kernelINS0_14default_configENS1_22reduce_config_selectorI11minmax_pairIiEEEZNS1_11reduce_implILb1ES3_PS6_S9_S6_16minmax_binary_opIiEEE10hipError_tPvRmT1_T2_T3_mT4_P12ihipStream_tbEUlT_E1_NS1_11comp_targetILNS1_3genE4ELNS1_11target_archE910ELNS1_3gpuE8ELNS1_3repE0EEENS1_30default_config_static_selectorELNS0_4arch9wavefront6targetE0EEEvSF_.num_agpr, 0
	.set _ZN7rocprim17ROCPRIM_400000_NS6detail17trampoline_kernelINS0_14default_configENS1_22reduce_config_selectorI11minmax_pairIiEEEZNS1_11reduce_implILb1ES3_PS6_S9_S6_16minmax_binary_opIiEEE10hipError_tPvRmT1_T2_T3_mT4_P12ihipStream_tbEUlT_E1_NS1_11comp_targetILNS1_3genE4ELNS1_11target_archE910ELNS1_3gpuE8ELNS1_3repE0EEENS1_30default_config_static_selectorELNS0_4arch9wavefront6targetE0EEEvSF_.numbered_sgpr, 0
	.set _ZN7rocprim17ROCPRIM_400000_NS6detail17trampoline_kernelINS0_14default_configENS1_22reduce_config_selectorI11minmax_pairIiEEEZNS1_11reduce_implILb1ES3_PS6_S9_S6_16minmax_binary_opIiEEE10hipError_tPvRmT1_T2_T3_mT4_P12ihipStream_tbEUlT_E1_NS1_11comp_targetILNS1_3genE4ELNS1_11target_archE910ELNS1_3gpuE8ELNS1_3repE0EEENS1_30default_config_static_selectorELNS0_4arch9wavefront6targetE0EEEvSF_.num_named_barrier, 0
	.set _ZN7rocprim17ROCPRIM_400000_NS6detail17trampoline_kernelINS0_14default_configENS1_22reduce_config_selectorI11minmax_pairIiEEEZNS1_11reduce_implILb1ES3_PS6_S9_S6_16minmax_binary_opIiEEE10hipError_tPvRmT1_T2_T3_mT4_P12ihipStream_tbEUlT_E1_NS1_11comp_targetILNS1_3genE4ELNS1_11target_archE910ELNS1_3gpuE8ELNS1_3repE0EEENS1_30default_config_static_selectorELNS0_4arch9wavefront6targetE0EEEvSF_.private_seg_size, 0
	.set _ZN7rocprim17ROCPRIM_400000_NS6detail17trampoline_kernelINS0_14default_configENS1_22reduce_config_selectorI11minmax_pairIiEEEZNS1_11reduce_implILb1ES3_PS6_S9_S6_16minmax_binary_opIiEEE10hipError_tPvRmT1_T2_T3_mT4_P12ihipStream_tbEUlT_E1_NS1_11comp_targetILNS1_3genE4ELNS1_11target_archE910ELNS1_3gpuE8ELNS1_3repE0EEENS1_30default_config_static_selectorELNS0_4arch9wavefront6targetE0EEEvSF_.uses_vcc, 0
	.set _ZN7rocprim17ROCPRIM_400000_NS6detail17trampoline_kernelINS0_14default_configENS1_22reduce_config_selectorI11minmax_pairIiEEEZNS1_11reduce_implILb1ES3_PS6_S9_S6_16minmax_binary_opIiEEE10hipError_tPvRmT1_T2_T3_mT4_P12ihipStream_tbEUlT_E1_NS1_11comp_targetILNS1_3genE4ELNS1_11target_archE910ELNS1_3gpuE8ELNS1_3repE0EEENS1_30default_config_static_selectorELNS0_4arch9wavefront6targetE0EEEvSF_.uses_flat_scratch, 0
	.set _ZN7rocprim17ROCPRIM_400000_NS6detail17trampoline_kernelINS0_14default_configENS1_22reduce_config_selectorI11minmax_pairIiEEEZNS1_11reduce_implILb1ES3_PS6_S9_S6_16minmax_binary_opIiEEE10hipError_tPvRmT1_T2_T3_mT4_P12ihipStream_tbEUlT_E1_NS1_11comp_targetILNS1_3genE4ELNS1_11target_archE910ELNS1_3gpuE8ELNS1_3repE0EEENS1_30default_config_static_selectorELNS0_4arch9wavefront6targetE0EEEvSF_.has_dyn_sized_stack, 0
	.set _ZN7rocprim17ROCPRIM_400000_NS6detail17trampoline_kernelINS0_14default_configENS1_22reduce_config_selectorI11minmax_pairIiEEEZNS1_11reduce_implILb1ES3_PS6_S9_S6_16minmax_binary_opIiEEE10hipError_tPvRmT1_T2_T3_mT4_P12ihipStream_tbEUlT_E1_NS1_11comp_targetILNS1_3genE4ELNS1_11target_archE910ELNS1_3gpuE8ELNS1_3repE0EEENS1_30default_config_static_selectorELNS0_4arch9wavefront6targetE0EEEvSF_.has_recursion, 0
	.set _ZN7rocprim17ROCPRIM_400000_NS6detail17trampoline_kernelINS0_14default_configENS1_22reduce_config_selectorI11minmax_pairIiEEEZNS1_11reduce_implILb1ES3_PS6_S9_S6_16minmax_binary_opIiEEE10hipError_tPvRmT1_T2_T3_mT4_P12ihipStream_tbEUlT_E1_NS1_11comp_targetILNS1_3genE4ELNS1_11target_archE910ELNS1_3gpuE8ELNS1_3repE0EEENS1_30default_config_static_selectorELNS0_4arch9wavefront6targetE0EEEvSF_.has_indirect_call, 0
	.section	.AMDGPU.csdata,"",@progbits
; Kernel info:
; codeLenInByte = 0
; TotalNumSgprs: 0
; NumVgprs: 0
; ScratchSize: 0
; MemoryBound: 0
; FloatMode: 240
; IeeeMode: 1
; LDSByteSize: 0 bytes/workgroup (compile time only)
; SGPRBlocks: 0
; VGPRBlocks: 0
; NumSGPRsForWavesPerEU: 1
; NumVGPRsForWavesPerEU: 1
; NamedBarCnt: 0
; Occupancy: 16
; WaveLimiterHint : 0
; COMPUTE_PGM_RSRC2:SCRATCH_EN: 0
; COMPUTE_PGM_RSRC2:USER_SGPR: 2
; COMPUTE_PGM_RSRC2:TRAP_HANDLER: 0
; COMPUTE_PGM_RSRC2:TGID_X_EN: 1
; COMPUTE_PGM_RSRC2:TGID_Y_EN: 0
; COMPUTE_PGM_RSRC2:TGID_Z_EN: 0
; COMPUTE_PGM_RSRC2:TIDIG_COMP_CNT: 0
	.section	.text._ZN7rocprim17ROCPRIM_400000_NS6detail17trampoline_kernelINS0_14default_configENS1_22reduce_config_selectorI11minmax_pairIiEEEZNS1_11reduce_implILb1ES3_PS6_S9_S6_16minmax_binary_opIiEEE10hipError_tPvRmT1_T2_T3_mT4_P12ihipStream_tbEUlT_E1_NS1_11comp_targetILNS1_3genE3ELNS1_11target_archE908ELNS1_3gpuE7ELNS1_3repE0EEENS1_30default_config_static_selectorELNS0_4arch9wavefront6targetE0EEEvSF_,"axG",@progbits,_ZN7rocprim17ROCPRIM_400000_NS6detail17trampoline_kernelINS0_14default_configENS1_22reduce_config_selectorI11minmax_pairIiEEEZNS1_11reduce_implILb1ES3_PS6_S9_S6_16minmax_binary_opIiEEE10hipError_tPvRmT1_T2_T3_mT4_P12ihipStream_tbEUlT_E1_NS1_11comp_targetILNS1_3genE3ELNS1_11target_archE908ELNS1_3gpuE7ELNS1_3repE0EEENS1_30default_config_static_selectorELNS0_4arch9wavefront6targetE0EEEvSF_,comdat
	.protected	_ZN7rocprim17ROCPRIM_400000_NS6detail17trampoline_kernelINS0_14default_configENS1_22reduce_config_selectorI11minmax_pairIiEEEZNS1_11reduce_implILb1ES3_PS6_S9_S6_16minmax_binary_opIiEEE10hipError_tPvRmT1_T2_T3_mT4_P12ihipStream_tbEUlT_E1_NS1_11comp_targetILNS1_3genE3ELNS1_11target_archE908ELNS1_3gpuE7ELNS1_3repE0EEENS1_30default_config_static_selectorELNS0_4arch9wavefront6targetE0EEEvSF_ ; -- Begin function _ZN7rocprim17ROCPRIM_400000_NS6detail17trampoline_kernelINS0_14default_configENS1_22reduce_config_selectorI11minmax_pairIiEEEZNS1_11reduce_implILb1ES3_PS6_S9_S6_16minmax_binary_opIiEEE10hipError_tPvRmT1_T2_T3_mT4_P12ihipStream_tbEUlT_E1_NS1_11comp_targetILNS1_3genE3ELNS1_11target_archE908ELNS1_3gpuE7ELNS1_3repE0EEENS1_30default_config_static_selectorELNS0_4arch9wavefront6targetE0EEEvSF_
	.globl	_ZN7rocprim17ROCPRIM_400000_NS6detail17trampoline_kernelINS0_14default_configENS1_22reduce_config_selectorI11minmax_pairIiEEEZNS1_11reduce_implILb1ES3_PS6_S9_S6_16minmax_binary_opIiEEE10hipError_tPvRmT1_T2_T3_mT4_P12ihipStream_tbEUlT_E1_NS1_11comp_targetILNS1_3genE3ELNS1_11target_archE908ELNS1_3gpuE7ELNS1_3repE0EEENS1_30default_config_static_selectorELNS0_4arch9wavefront6targetE0EEEvSF_
	.p2align	8
	.type	_ZN7rocprim17ROCPRIM_400000_NS6detail17trampoline_kernelINS0_14default_configENS1_22reduce_config_selectorI11minmax_pairIiEEEZNS1_11reduce_implILb1ES3_PS6_S9_S6_16minmax_binary_opIiEEE10hipError_tPvRmT1_T2_T3_mT4_P12ihipStream_tbEUlT_E1_NS1_11comp_targetILNS1_3genE3ELNS1_11target_archE908ELNS1_3gpuE7ELNS1_3repE0EEENS1_30default_config_static_selectorELNS0_4arch9wavefront6targetE0EEEvSF_,@function
_ZN7rocprim17ROCPRIM_400000_NS6detail17trampoline_kernelINS0_14default_configENS1_22reduce_config_selectorI11minmax_pairIiEEEZNS1_11reduce_implILb1ES3_PS6_S9_S6_16minmax_binary_opIiEEE10hipError_tPvRmT1_T2_T3_mT4_P12ihipStream_tbEUlT_E1_NS1_11comp_targetILNS1_3genE3ELNS1_11target_archE908ELNS1_3gpuE7ELNS1_3repE0EEENS1_30default_config_static_selectorELNS0_4arch9wavefront6targetE0EEEvSF_: ; @_ZN7rocprim17ROCPRIM_400000_NS6detail17trampoline_kernelINS0_14default_configENS1_22reduce_config_selectorI11minmax_pairIiEEEZNS1_11reduce_implILb1ES3_PS6_S9_S6_16minmax_binary_opIiEEE10hipError_tPvRmT1_T2_T3_mT4_P12ihipStream_tbEUlT_E1_NS1_11comp_targetILNS1_3genE3ELNS1_11target_archE908ELNS1_3gpuE7ELNS1_3repE0EEENS1_30default_config_static_selectorELNS0_4arch9wavefront6targetE0EEEvSF_
; %bb.0:
	.section	.rodata,"a",@progbits
	.p2align	6, 0x0
	.amdhsa_kernel _ZN7rocprim17ROCPRIM_400000_NS6detail17trampoline_kernelINS0_14default_configENS1_22reduce_config_selectorI11minmax_pairIiEEEZNS1_11reduce_implILb1ES3_PS6_S9_S6_16minmax_binary_opIiEEE10hipError_tPvRmT1_T2_T3_mT4_P12ihipStream_tbEUlT_E1_NS1_11comp_targetILNS1_3genE3ELNS1_11target_archE908ELNS1_3gpuE7ELNS1_3repE0EEENS1_30default_config_static_selectorELNS0_4arch9wavefront6targetE0EEEvSF_
		.amdhsa_group_segment_fixed_size 0
		.amdhsa_private_segment_fixed_size 0
		.amdhsa_kernarg_size 48
		.amdhsa_user_sgpr_count 2
		.amdhsa_user_sgpr_dispatch_ptr 0
		.amdhsa_user_sgpr_queue_ptr 0
		.amdhsa_user_sgpr_kernarg_segment_ptr 1
		.amdhsa_user_sgpr_dispatch_id 0
		.amdhsa_user_sgpr_kernarg_preload_length 0
		.amdhsa_user_sgpr_kernarg_preload_offset 0
		.amdhsa_user_sgpr_private_segment_size 0
		.amdhsa_wavefront_size32 1
		.amdhsa_uses_dynamic_stack 0
		.amdhsa_enable_private_segment 0
		.amdhsa_system_sgpr_workgroup_id_x 1
		.amdhsa_system_sgpr_workgroup_id_y 0
		.amdhsa_system_sgpr_workgroup_id_z 0
		.amdhsa_system_sgpr_workgroup_info 0
		.amdhsa_system_vgpr_workitem_id 0
		.amdhsa_next_free_vgpr 1
		.amdhsa_next_free_sgpr 1
		.amdhsa_named_barrier_count 0
		.amdhsa_reserve_vcc 0
		.amdhsa_float_round_mode_32 0
		.amdhsa_float_round_mode_16_64 0
		.amdhsa_float_denorm_mode_32 3
		.amdhsa_float_denorm_mode_16_64 3
		.amdhsa_fp16_overflow 0
		.amdhsa_memory_ordered 1
		.amdhsa_forward_progress 1
		.amdhsa_inst_pref_size 0
		.amdhsa_round_robin_scheduling 0
		.amdhsa_exception_fp_ieee_invalid_op 0
		.amdhsa_exception_fp_denorm_src 0
		.amdhsa_exception_fp_ieee_div_zero 0
		.amdhsa_exception_fp_ieee_overflow 0
		.amdhsa_exception_fp_ieee_underflow 0
		.amdhsa_exception_fp_ieee_inexact 0
		.amdhsa_exception_int_div_zero 0
	.end_amdhsa_kernel
	.section	.text._ZN7rocprim17ROCPRIM_400000_NS6detail17trampoline_kernelINS0_14default_configENS1_22reduce_config_selectorI11minmax_pairIiEEEZNS1_11reduce_implILb1ES3_PS6_S9_S6_16minmax_binary_opIiEEE10hipError_tPvRmT1_T2_T3_mT4_P12ihipStream_tbEUlT_E1_NS1_11comp_targetILNS1_3genE3ELNS1_11target_archE908ELNS1_3gpuE7ELNS1_3repE0EEENS1_30default_config_static_selectorELNS0_4arch9wavefront6targetE0EEEvSF_,"axG",@progbits,_ZN7rocprim17ROCPRIM_400000_NS6detail17trampoline_kernelINS0_14default_configENS1_22reduce_config_selectorI11minmax_pairIiEEEZNS1_11reduce_implILb1ES3_PS6_S9_S6_16minmax_binary_opIiEEE10hipError_tPvRmT1_T2_T3_mT4_P12ihipStream_tbEUlT_E1_NS1_11comp_targetILNS1_3genE3ELNS1_11target_archE908ELNS1_3gpuE7ELNS1_3repE0EEENS1_30default_config_static_selectorELNS0_4arch9wavefront6targetE0EEEvSF_,comdat
.Lfunc_end13:
	.size	_ZN7rocprim17ROCPRIM_400000_NS6detail17trampoline_kernelINS0_14default_configENS1_22reduce_config_selectorI11minmax_pairIiEEEZNS1_11reduce_implILb1ES3_PS6_S9_S6_16minmax_binary_opIiEEE10hipError_tPvRmT1_T2_T3_mT4_P12ihipStream_tbEUlT_E1_NS1_11comp_targetILNS1_3genE3ELNS1_11target_archE908ELNS1_3gpuE7ELNS1_3repE0EEENS1_30default_config_static_selectorELNS0_4arch9wavefront6targetE0EEEvSF_, .Lfunc_end13-_ZN7rocprim17ROCPRIM_400000_NS6detail17trampoline_kernelINS0_14default_configENS1_22reduce_config_selectorI11minmax_pairIiEEEZNS1_11reduce_implILb1ES3_PS6_S9_S6_16minmax_binary_opIiEEE10hipError_tPvRmT1_T2_T3_mT4_P12ihipStream_tbEUlT_E1_NS1_11comp_targetILNS1_3genE3ELNS1_11target_archE908ELNS1_3gpuE7ELNS1_3repE0EEENS1_30default_config_static_selectorELNS0_4arch9wavefront6targetE0EEEvSF_
                                        ; -- End function
	.set _ZN7rocprim17ROCPRIM_400000_NS6detail17trampoline_kernelINS0_14default_configENS1_22reduce_config_selectorI11minmax_pairIiEEEZNS1_11reduce_implILb1ES3_PS6_S9_S6_16minmax_binary_opIiEEE10hipError_tPvRmT1_T2_T3_mT4_P12ihipStream_tbEUlT_E1_NS1_11comp_targetILNS1_3genE3ELNS1_11target_archE908ELNS1_3gpuE7ELNS1_3repE0EEENS1_30default_config_static_selectorELNS0_4arch9wavefront6targetE0EEEvSF_.num_vgpr, 0
	.set _ZN7rocprim17ROCPRIM_400000_NS6detail17trampoline_kernelINS0_14default_configENS1_22reduce_config_selectorI11minmax_pairIiEEEZNS1_11reduce_implILb1ES3_PS6_S9_S6_16minmax_binary_opIiEEE10hipError_tPvRmT1_T2_T3_mT4_P12ihipStream_tbEUlT_E1_NS1_11comp_targetILNS1_3genE3ELNS1_11target_archE908ELNS1_3gpuE7ELNS1_3repE0EEENS1_30default_config_static_selectorELNS0_4arch9wavefront6targetE0EEEvSF_.num_agpr, 0
	.set _ZN7rocprim17ROCPRIM_400000_NS6detail17trampoline_kernelINS0_14default_configENS1_22reduce_config_selectorI11minmax_pairIiEEEZNS1_11reduce_implILb1ES3_PS6_S9_S6_16minmax_binary_opIiEEE10hipError_tPvRmT1_T2_T3_mT4_P12ihipStream_tbEUlT_E1_NS1_11comp_targetILNS1_3genE3ELNS1_11target_archE908ELNS1_3gpuE7ELNS1_3repE0EEENS1_30default_config_static_selectorELNS0_4arch9wavefront6targetE0EEEvSF_.numbered_sgpr, 0
	.set _ZN7rocprim17ROCPRIM_400000_NS6detail17trampoline_kernelINS0_14default_configENS1_22reduce_config_selectorI11minmax_pairIiEEEZNS1_11reduce_implILb1ES3_PS6_S9_S6_16minmax_binary_opIiEEE10hipError_tPvRmT1_T2_T3_mT4_P12ihipStream_tbEUlT_E1_NS1_11comp_targetILNS1_3genE3ELNS1_11target_archE908ELNS1_3gpuE7ELNS1_3repE0EEENS1_30default_config_static_selectorELNS0_4arch9wavefront6targetE0EEEvSF_.num_named_barrier, 0
	.set _ZN7rocprim17ROCPRIM_400000_NS6detail17trampoline_kernelINS0_14default_configENS1_22reduce_config_selectorI11minmax_pairIiEEEZNS1_11reduce_implILb1ES3_PS6_S9_S6_16minmax_binary_opIiEEE10hipError_tPvRmT1_T2_T3_mT4_P12ihipStream_tbEUlT_E1_NS1_11comp_targetILNS1_3genE3ELNS1_11target_archE908ELNS1_3gpuE7ELNS1_3repE0EEENS1_30default_config_static_selectorELNS0_4arch9wavefront6targetE0EEEvSF_.private_seg_size, 0
	.set _ZN7rocprim17ROCPRIM_400000_NS6detail17trampoline_kernelINS0_14default_configENS1_22reduce_config_selectorI11minmax_pairIiEEEZNS1_11reduce_implILb1ES3_PS6_S9_S6_16minmax_binary_opIiEEE10hipError_tPvRmT1_T2_T3_mT4_P12ihipStream_tbEUlT_E1_NS1_11comp_targetILNS1_3genE3ELNS1_11target_archE908ELNS1_3gpuE7ELNS1_3repE0EEENS1_30default_config_static_selectorELNS0_4arch9wavefront6targetE0EEEvSF_.uses_vcc, 0
	.set _ZN7rocprim17ROCPRIM_400000_NS6detail17trampoline_kernelINS0_14default_configENS1_22reduce_config_selectorI11minmax_pairIiEEEZNS1_11reduce_implILb1ES3_PS6_S9_S6_16minmax_binary_opIiEEE10hipError_tPvRmT1_T2_T3_mT4_P12ihipStream_tbEUlT_E1_NS1_11comp_targetILNS1_3genE3ELNS1_11target_archE908ELNS1_3gpuE7ELNS1_3repE0EEENS1_30default_config_static_selectorELNS0_4arch9wavefront6targetE0EEEvSF_.uses_flat_scratch, 0
	.set _ZN7rocprim17ROCPRIM_400000_NS6detail17trampoline_kernelINS0_14default_configENS1_22reduce_config_selectorI11minmax_pairIiEEEZNS1_11reduce_implILb1ES3_PS6_S9_S6_16minmax_binary_opIiEEE10hipError_tPvRmT1_T2_T3_mT4_P12ihipStream_tbEUlT_E1_NS1_11comp_targetILNS1_3genE3ELNS1_11target_archE908ELNS1_3gpuE7ELNS1_3repE0EEENS1_30default_config_static_selectorELNS0_4arch9wavefront6targetE0EEEvSF_.has_dyn_sized_stack, 0
	.set _ZN7rocprim17ROCPRIM_400000_NS6detail17trampoline_kernelINS0_14default_configENS1_22reduce_config_selectorI11minmax_pairIiEEEZNS1_11reduce_implILb1ES3_PS6_S9_S6_16minmax_binary_opIiEEE10hipError_tPvRmT1_T2_T3_mT4_P12ihipStream_tbEUlT_E1_NS1_11comp_targetILNS1_3genE3ELNS1_11target_archE908ELNS1_3gpuE7ELNS1_3repE0EEENS1_30default_config_static_selectorELNS0_4arch9wavefront6targetE0EEEvSF_.has_recursion, 0
	.set _ZN7rocprim17ROCPRIM_400000_NS6detail17trampoline_kernelINS0_14default_configENS1_22reduce_config_selectorI11minmax_pairIiEEEZNS1_11reduce_implILb1ES3_PS6_S9_S6_16minmax_binary_opIiEEE10hipError_tPvRmT1_T2_T3_mT4_P12ihipStream_tbEUlT_E1_NS1_11comp_targetILNS1_3genE3ELNS1_11target_archE908ELNS1_3gpuE7ELNS1_3repE0EEENS1_30default_config_static_selectorELNS0_4arch9wavefront6targetE0EEEvSF_.has_indirect_call, 0
	.section	.AMDGPU.csdata,"",@progbits
; Kernel info:
; codeLenInByte = 0
; TotalNumSgprs: 0
; NumVgprs: 0
; ScratchSize: 0
; MemoryBound: 0
; FloatMode: 240
; IeeeMode: 1
; LDSByteSize: 0 bytes/workgroup (compile time only)
; SGPRBlocks: 0
; VGPRBlocks: 0
; NumSGPRsForWavesPerEU: 1
; NumVGPRsForWavesPerEU: 1
; NamedBarCnt: 0
; Occupancy: 16
; WaveLimiterHint : 0
; COMPUTE_PGM_RSRC2:SCRATCH_EN: 0
; COMPUTE_PGM_RSRC2:USER_SGPR: 2
; COMPUTE_PGM_RSRC2:TRAP_HANDLER: 0
; COMPUTE_PGM_RSRC2:TGID_X_EN: 1
; COMPUTE_PGM_RSRC2:TGID_Y_EN: 0
; COMPUTE_PGM_RSRC2:TGID_Z_EN: 0
; COMPUTE_PGM_RSRC2:TIDIG_COMP_CNT: 0
	.section	.text._ZN7rocprim17ROCPRIM_400000_NS6detail17trampoline_kernelINS0_14default_configENS1_22reduce_config_selectorI11minmax_pairIiEEEZNS1_11reduce_implILb1ES3_PS6_S9_S6_16minmax_binary_opIiEEE10hipError_tPvRmT1_T2_T3_mT4_P12ihipStream_tbEUlT_E1_NS1_11comp_targetILNS1_3genE2ELNS1_11target_archE906ELNS1_3gpuE6ELNS1_3repE0EEENS1_30default_config_static_selectorELNS0_4arch9wavefront6targetE0EEEvSF_,"axG",@progbits,_ZN7rocprim17ROCPRIM_400000_NS6detail17trampoline_kernelINS0_14default_configENS1_22reduce_config_selectorI11minmax_pairIiEEEZNS1_11reduce_implILb1ES3_PS6_S9_S6_16minmax_binary_opIiEEE10hipError_tPvRmT1_T2_T3_mT4_P12ihipStream_tbEUlT_E1_NS1_11comp_targetILNS1_3genE2ELNS1_11target_archE906ELNS1_3gpuE6ELNS1_3repE0EEENS1_30default_config_static_selectorELNS0_4arch9wavefront6targetE0EEEvSF_,comdat
	.protected	_ZN7rocprim17ROCPRIM_400000_NS6detail17trampoline_kernelINS0_14default_configENS1_22reduce_config_selectorI11minmax_pairIiEEEZNS1_11reduce_implILb1ES3_PS6_S9_S6_16minmax_binary_opIiEEE10hipError_tPvRmT1_T2_T3_mT4_P12ihipStream_tbEUlT_E1_NS1_11comp_targetILNS1_3genE2ELNS1_11target_archE906ELNS1_3gpuE6ELNS1_3repE0EEENS1_30default_config_static_selectorELNS0_4arch9wavefront6targetE0EEEvSF_ ; -- Begin function _ZN7rocprim17ROCPRIM_400000_NS6detail17trampoline_kernelINS0_14default_configENS1_22reduce_config_selectorI11minmax_pairIiEEEZNS1_11reduce_implILb1ES3_PS6_S9_S6_16minmax_binary_opIiEEE10hipError_tPvRmT1_T2_T3_mT4_P12ihipStream_tbEUlT_E1_NS1_11comp_targetILNS1_3genE2ELNS1_11target_archE906ELNS1_3gpuE6ELNS1_3repE0EEENS1_30default_config_static_selectorELNS0_4arch9wavefront6targetE0EEEvSF_
	.globl	_ZN7rocprim17ROCPRIM_400000_NS6detail17trampoline_kernelINS0_14default_configENS1_22reduce_config_selectorI11minmax_pairIiEEEZNS1_11reduce_implILb1ES3_PS6_S9_S6_16minmax_binary_opIiEEE10hipError_tPvRmT1_T2_T3_mT4_P12ihipStream_tbEUlT_E1_NS1_11comp_targetILNS1_3genE2ELNS1_11target_archE906ELNS1_3gpuE6ELNS1_3repE0EEENS1_30default_config_static_selectorELNS0_4arch9wavefront6targetE0EEEvSF_
	.p2align	8
	.type	_ZN7rocprim17ROCPRIM_400000_NS6detail17trampoline_kernelINS0_14default_configENS1_22reduce_config_selectorI11minmax_pairIiEEEZNS1_11reduce_implILb1ES3_PS6_S9_S6_16minmax_binary_opIiEEE10hipError_tPvRmT1_T2_T3_mT4_P12ihipStream_tbEUlT_E1_NS1_11comp_targetILNS1_3genE2ELNS1_11target_archE906ELNS1_3gpuE6ELNS1_3repE0EEENS1_30default_config_static_selectorELNS0_4arch9wavefront6targetE0EEEvSF_,@function
_ZN7rocprim17ROCPRIM_400000_NS6detail17trampoline_kernelINS0_14default_configENS1_22reduce_config_selectorI11minmax_pairIiEEEZNS1_11reduce_implILb1ES3_PS6_S9_S6_16minmax_binary_opIiEEE10hipError_tPvRmT1_T2_T3_mT4_P12ihipStream_tbEUlT_E1_NS1_11comp_targetILNS1_3genE2ELNS1_11target_archE906ELNS1_3gpuE6ELNS1_3repE0EEENS1_30default_config_static_selectorELNS0_4arch9wavefront6targetE0EEEvSF_: ; @_ZN7rocprim17ROCPRIM_400000_NS6detail17trampoline_kernelINS0_14default_configENS1_22reduce_config_selectorI11minmax_pairIiEEEZNS1_11reduce_implILb1ES3_PS6_S9_S6_16minmax_binary_opIiEEE10hipError_tPvRmT1_T2_T3_mT4_P12ihipStream_tbEUlT_E1_NS1_11comp_targetILNS1_3genE2ELNS1_11target_archE906ELNS1_3gpuE6ELNS1_3repE0EEENS1_30default_config_static_selectorELNS0_4arch9wavefront6targetE0EEEvSF_
; %bb.0:
	.section	.rodata,"a",@progbits
	.p2align	6, 0x0
	.amdhsa_kernel _ZN7rocprim17ROCPRIM_400000_NS6detail17trampoline_kernelINS0_14default_configENS1_22reduce_config_selectorI11minmax_pairIiEEEZNS1_11reduce_implILb1ES3_PS6_S9_S6_16minmax_binary_opIiEEE10hipError_tPvRmT1_T2_T3_mT4_P12ihipStream_tbEUlT_E1_NS1_11comp_targetILNS1_3genE2ELNS1_11target_archE906ELNS1_3gpuE6ELNS1_3repE0EEENS1_30default_config_static_selectorELNS0_4arch9wavefront6targetE0EEEvSF_
		.amdhsa_group_segment_fixed_size 0
		.amdhsa_private_segment_fixed_size 0
		.amdhsa_kernarg_size 48
		.amdhsa_user_sgpr_count 2
		.amdhsa_user_sgpr_dispatch_ptr 0
		.amdhsa_user_sgpr_queue_ptr 0
		.amdhsa_user_sgpr_kernarg_segment_ptr 1
		.amdhsa_user_sgpr_dispatch_id 0
		.amdhsa_user_sgpr_kernarg_preload_length 0
		.amdhsa_user_sgpr_kernarg_preload_offset 0
		.amdhsa_user_sgpr_private_segment_size 0
		.amdhsa_wavefront_size32 1
		.amdhsa_uses_dynamic_stack 0
		.amdhsa_enable_private_segment 0
		.amdhsa_system_sgpr_workgroup_id_x 1
		.amdhsa_system_sgpr_workgroup_id_y 0
		.amdhsa_system_sgpr_workgroup_id_z 0
		.amdhsa_system_sgpr_workgroup_info 0
		.amdhsa_system_vgpr_workitem_id 0
		.amdhsa_next_free_vgpr 1
		.amdhsa_next_free_sgpr 1
		.amdhsa_named_barrier_count 0
		.amdhsa_reserve_vcc 0
		.amdhsa_float_round_mode_32 0
		.amdhsa_float_round_mode_16_64 0
		.amdhsa_float_denorm_mode_32 3
		.amdhsa_float_denorm_mode_16_64 3
		.amdhsa_fp16_overflow 0
		.amdhsa_memory_ordered 1
		.amdhsa_forward_progress 1
		.amdhsa_inst_pref_size 0
		.amdhsa_round_robin_scheduling 0
		.amdhsa_exception_fp_ieee_invalid_op 0
		.amdhsa_exception_fp_denorm_src 0
		.amdhsa_exception_fp_ieee_div_zero 0
		.amdhsa_exception_fp_ieee_overflow 0
		.amdhsa_exception_fp_ieee_underflow 0
		.amdhsa_exception_fp_ieee_inexact 0
		.amdhsa_exception_int_div_zero 0
	.end_amdhsa_kernel
	.section	.text._ZN7rocprim17ROCPRIM_400000_NS6detail17trampoline_kernelINS0_14default_configENS1_22reduce_config_selectorI11minmax_pairIiEEEZNS1_11reduce_implILb1ES3_PS6_S9_S6_16minmax_binary_opIiEEE10hipError_tPvRmT1_T2_T3_mT4_P12ihipStream_tbEUlT_E1_NS1_11comp_targetILNS1_3genE2ELNS1_11target_archE906ELNS1_3gpuE6ELNS1_3repE0EEENS1_30default_config_static_selectorELNS0_4arch9wavefront6targetE0EEEvSF_,"axG",@progbits,_ZN7rocprim17ROCPRIM_400000_NS6detail17trampoline_kernelINS0_14default_configENS1_22reduce_config_selectorI11minmax_pairIiEEEZNS1_11reduce_implILb1ES3_PS6_S9_S6_16minmax_binary_opIiEEE10hipError_tPvRmT1_T2_T3_mT4_P12ihipStream_tbEUlT_E1_NS1_11comp_targetILNS1_3genE2ELNS1_11target_archE906ELNS1_3gpuE6ELNS1_3repE0EEENS1_30default_config_static_selectorELNS0_4arch9wavefront6targetE0EEEvSF_,comdat
.Lfunc_end14:
	.size	_ZN7rocprim17ROCPRIM_400000_NS6detail17trampoline_kernelINS0_14default_configENS1_22reduce_config_selectorI11minmax_pairIiEEEZNS1_11reduce_implILb1ES3_PS6_S9_S6_16minmax_binary_opIiEEE10hipError_tPvRmT1_T2_T3_mT4_P12ihipStream_tbEUlT_E1_NS1_11comp_targetILNS1_3genE2ELNS1_11target_archE906ELNS1_3gpuE6ELNS1_3repE0EEENS1_30default_config_static_selectorELNS0_4arch9wavefront6targetE0EEEvSF_, .Lfunc_end14-_ZN7rocprim17ROCPRIM_400000_NS6detail17trampoline_kernelINS0_14default_configENS1_22reduce_config_selectorI11minmax_pairIiEEEZNS1_11reduce_implILb1ES3_PS6_S9_S6_16minmax_binary_opIiEEE10hipError_tPvRmT1_T2_T3_mT4_P12ihipStream_tbEUlT_E1_NS1_11comp_targetILNS1_3genE2ELNS1_11target_archE906ELNS1_3gpuE6ELNS1_3repE0EEENS1_30default_config_static_selectorELNS0_4arch9wavefront6targetE0EEEvSF_
                                        ; -- End function
	.set _ZN7rocprim17ROCPRIM_400000_NS6detail17trampoline_kernelINS0_14default_configENS1_22reduce_config_selectorI11minmax_pairIiEEEZNS1_11reduce_implILb1ES3_PS6_S9_S6_16minmax_binary_opIiEEE10hipError_tPvRmT1_T2_T3_mT4_P12ihipStream_tbEUlT_E1_NS1_11comp_targetILNS1_3genE2ELNS1_11target_archE906ELNS1_3gpuE6ELNS1_3repE0EEENS1_30default_config_static_selectorELNS0_4arch9wavefront6targetE0EEEvSF_.num_vgpr, 0
	.set _ZN7rocprim17ROCPRIM_400000_NS6detail17trampoline_kernelINS0_14default_configENS1_22reduce_config_selectorI11minmax_pairIiEEEZNS1_11reduce_implILb1ES3_PS6_S9_S6_16minmax_binary_opIiEEE10hipError_tPvRmT1_T2_T3_mT4_P12ihipStream_tbEUlT_E1_NS1_11comp_targetILNS1_3genE2ELNS1_11target_archE906ELNS1_3gpuE6ELNS1_3repE0EEENS1_30default_config_static_selectorELNS0_4arch9wavefront6targetE0EEEvSF_.num_agpr, 0
	.set _ZN7rocprim17ROCPRIM_400000_NS6detail17trampoline_kernelINS0_14default_configENS1_22reduce_config_selectorI11minmax_pairIiEEEZNS1_11reduce_implILb1ES3_PS6_S9_S6_16minmax_binary_opIiEEE10hipError_tPvRmT1_T2_T3_mT4_P12ihipStream_tbEUlT_E1_NS1_11comp_targetILNS1_3genE2ELNS1_11target_archE906ELNS1_3gpuE6ELNS1_3repE0EEENS1_30default_config_static_selectorELNS0_4arch9wavefront6targetE0EEEvSF_.numbered_sgpr, 0
	.set _ZN7rocprim17ROCPRIM_400000_NS6detail17trampoline_kernelINS0_14default_configENS1_22reduce_config_selectorI11minmax_pairIiEEEZNS1_11reduce_implILb1ES3_PS6_S9_S6_16minmax_binary_opIiEEE10hipError_tPvRmT1_T2_T3_mT4_P12ihipStream_tbEUlT_E1_NS1_11comp_targetILNS1_3genE2ELNS1_11target_archE906ELNS1_3gpuE6ELNS1_3repE0EEENS1_30default_config_static_selectorELNS0_4arch9wavefront6targetE0EEEvSF_.num_named_barrier, 0
	.set _ZN7rocprim17ROCPRIM_400000_NS6detail17trampoline_kernelINS0_14default_configENS1_22reduce_config_selectorI11minmax_pairIiEEEZNS1_11reduce_implILb1ES3_PS6_S9_S6_16minmax_binary_opIiEEE10hipError_tPvRmT1_T2_T3_mT4_P12ihipStream_tbEUlT_E1_NS1_11comp_targetILNS1_3genE2ELNS1_11target_archE906ELNS1_3gpuE6ELNS1_3repE0EEENS1_30default_config_static_selectorELNS0_4arch9wavefront6targetE0EEEvSF_.private_seg_size, 0
	.set _ZN7rocprim17ROCPRIM_400000_NS6detail17trampoline_kernelINS0_14default_configENS1_22reduce_config_selectorI11minmax_pairIiEEEZNS1_11reduce_implILb1ES3_PS6_S9_S6_16minmax_binary_opIiEEE10hipError_tPvRmT1_T2_T3_mT4_P12ihipStream_tbEUlT_E1_NS1_11comp_targetILNS1_3genE2ELNS1_11target_archE906ELNS1_3gpuE6ELNS1_3repE0EEENS1_30default_config_static_selectorELNS0_4arch9wavefront6targetE0EEEvSF_.uses_vcc, 0
	.set _ZN7rocprim17ROCPRIM_400000_NS6detail17trampoline_kernelINS0_14default_configENS1_22reduce_config_selectorI11minmax_pairIiEEEZNS1_11reduce_implILb1ES3_PS6_S9_S6_16minmax_binary_opIiEEE10hipError_tPvRmT1_T2_T3_mT4_P12ihipStream_tbEUlT_E1_NS1_11comp_targetILNS1_3genE2ELNS1_11target_archE906ELNS1_3gpuE6ELNS1_3repE0EEENS1_30default_config_static_selectorELNS0_4arch9wavefront6targetE0EEEvSF_.uses_flat_scratch, 0
	.set _ZN7rocprim17ROCPRIM_400000_NS6detail17trampoline_kernelINS0_14default_configENS1_22reduce_config_selectorI11minmax_pairIiEEEZNS1_11reduce_implILb1ES3_PS6_S9_S6_16minmax_binary_opIiEEE10hipError_tPvRmT1_T2_T3_mT4_P12ihipStream_tbEUlT_E1_NS1_11comp_targetILNS1_3genE2ELNS1_11target_archE906ELNS1_3gpuE6ELNS1_3repE0EEENS1_30default_config_static_selectorELNS0_4arch9wavefront6targetE0EEEvSF_.has_dyn_sized_stack, 0
	.set _ZN7rocprim17ROCPRIM_400000_NS6detail17trampoline_kernelINS0_14default_configENS1_22reduce_config_selectorI11minmax_pairIiEEEZNS1_11reduce_implILb1ES3_PS6_S9_S6_16minmax_binary_opIiEEE10hipError_tPvRmT1_T2_T3_mT4_P12ihipStream_tbEUlT_E1_NS1_11comp_targetILNS1_3genE2ELNS1_11target_archE906ELNS1_3gpuE6ELNS1_3repE0EEENS1_30default_config_static_selectorELNS0_4arch9wavefront6targetE0EEEvSF_.has_recursion, 0
	.set _ZN7rocprim17ROCPRIM_400000_NS6detail17trampoline_kernelINS0_14default_configENS1_22reduce_config_selectorI11minmax_pairIiEEEZNS1_11reduce_implILb1ES3_PS6_S9_S6_16minmax_binary_opIiEEE10hipError_tPvRmT1_T2_T3_mT4_P12ihipStream_tbEUlT_E1_NS1_11comp_targetILNS1_3genE2ELNS1_11target_archE906ELNS1_3gpuE6ELNS1_3repE0EEENS1_30default_config_static_selectorELNS0_4arch9wavefront6targetE0EEEvSF_.has_indirect_call, 0
	.section	.AMDGPU.csdata,"",@progbits
; Kernel info:
; codeLenInByte = 0
; TotalNumSgprs: 0
; NumVgprs: 0
; ScratchSize: 0
; MemoryBound: 0
; FloatMode: 240
; IeeeMode: 1
; LDSByteSize: 0 bytes/workgroup (compile time only)
; SGPRBlocks: 0
; VGPRBlocks: 0
; NumSGPRsForWavesPerEU: 1
; NumVGPRsForWavesPerEU: 1
; NamedBarCnt: 0
; Occupancy: 16
; WaveLimiterHint : 0
; COMPUTE_PGM_RSRC2:SCRATCH_EN: 0
; COMPUTE_PGM_RSRC2:USER_SGPR: 2
; COMPUTE_PGM_RSRC2:TRAP_HANDLER: 0
; COMPUTE_PGM_RSRC2:TGID_X_EN: 1
; COMPUTE_PGM_RSRC2:TGID_Y_EN: 0
; COMPUTE_PGM_RSRC2:TGID_Z_EN: 0
; COMPUTE_PGM_RSRC2:TIDIG_COMP_CNT: 0
	.section	.text._ZN7rocprim17ROCPRIM_400000_NS6detail17trampoline_kernelINS0_14default_configENS1_22reduce_config_selectorI11minmax_pairIiEEEZNS1_11reduce_implILb1ES3_PS6_S9_S6_16minmax_binary_opIiEEE10hipError_tPvRmT1_T2_T3_mT4_P12ihipStream_tbEUlT_E1_NS1_11comp_targetILNS1_3genE10ELNS1_11target_archE1201ELNS1_3gpuE5ELNS1_3repE0EEENS1_30default_config_static_selectorELNS0_4arch9wavefront6targetE0EEEvSF_,"axG",@progbits,_ZN7rocprim17ROCPRIM_400000_NS6detail17trampoline_kernelINS0_14default_configENS1_22reduce_config_selectorI11minmax_pairIiEEEZNS1_11reduce_implILb1ES3_PS6_S9_S6_16minmax_binary_opIiEEE10hipError_tPvRmT1_T2_T3_mT4_P12ihipStream_tbEUlT_E1_NS1_11comp_targetILNS1_3genE10ELNS1_11target_archE1201ELNS1_3gpuE5ELNS1_3repE0EEENS1_30default_config_static_selectorELNS0_4arch9wavefront6targetE0EEEvSF_,comdat
	.protected	_ZN7rocprim17ROCPRIM_400000_NS6detail17trampoline_kernelINS0_14default_configENS1_22reduce_config_selectorI11minmax_pairIiEEEZNS1_11reduce_implILb1ES3_PS6_S9_S6_16minmax_binary_opIiEEE10hipError_tPvRmT1_T2_T3_mT4_P12ihipStream_tbEUlT_E1_NS1_11comp_targetILNS1_3genE10ELNS1_11target_archE1201ELNS1_3gpuE5ELNS1_3repE0EEENS1_30default_config_static_selectorELNS0_4arch9wavefront6targetE0EEEvSF_ ; -- Begin function _ZN7rocprim17ROCPRIM_400000_NS6detail17trampoline_kernelINS0_14default_configENS1_22reduce_config_selectorI11minmax_pairIiEEEZNS1_11reduce_implILb1ES3_PS6_S9_S6_16minmax_binary_opIiEEE10hipError_tPvRmT1_T2_T3_mT4_P12ihipStream_tbEUlT_E1_NS1_11comp_targetILNS1_3genE10ELNS1_11target_archE1201ELNS1_3gpuE5ELNS1_3repE0EEENS1_30default_config_static_selectorELNS0_4arch9wavefront6targetE0EEEvSF_
	.globl	_ZN7rocprim17ROCPRIM_400000_NS6detail17trampoline_kernelINS0_14default_configENS1_22reduce_config_selectorI11minmax_pairIiEEEZNS1_11reduce_implILb1ES3_PS6_S9_S6_16minmax_binary_opIiEEE10hipError_tPvRmT1_T2_T3_mT4_P12ihipStream_tbEUlT_E1_NS1_11comp_targetILNS1_3genE10ELNS1_11target_archE1201ELNS1_3gpuE5ELNS1_3repE0EEENS1_30default_config_static_selectorELNS0_4arch9wavefront6targetE0EEEvSF_
	.p2align	8
	.type	_ZN7rocprim17ROCPRIM_400000_NS6detail17trampoline_kernelINS0_14default_configENS1_22reduce_config_selectorI11minmax_pairIiEEEZNS1_11reduce_implILb1ES3_PS6_S9_S6_16minmax_binary_opIiEEE10hipError_tPvRmT1_T2_T3_mT4_P12ihipStream_tbEUlT_E1_NS1_11comp_targetILNS1_3genE10ELNS1_11target_archE1201ELNS1_3gpuE5ELNS1_3repE0EEENS1_30default_config_static_selectorELNS0_4arch9wavefront6targetE0EEEvSF_,@function
_ZN7rocprim17ROCPRIM_400000_NS6detail17trampoline_kernelINS0_14default_configENS1_22reduce_config_selectorI11minmax_pairIiEEEZNS1_11reduce_implILb1ES3_PS6_S9_S6_16minmax_binary_opIiEEE10hipError_tPvRmT1_T2_T3_mT4_P12ihipStream_tbEUlT_E1_NS1_11comp_targetILNS1_3genE10ELNS1_11target_archE1201ELNS1_3gpuE5ELNS1_3repE0EEENS1_30default_config_static_selectorELNS0_4arch9wavefront6targetE0EEEvSF_: ; @_ZN7rocprim17ROCPRIM_400000_NS6detail17trampoline_kernelINS0_14default_configENS1_22reduce_config_selectorI11minmax_pairIiEEEZNS1_11reduce_implILb1ES3_PS6_S9_S6_16minmax_binary_opIiEEE10hipError_tPvRmT1_T2_T3_mT4_P12ihipStream_tbEUlT_E1_NS1_11comp_targetILNS1_3genE10ELNS1_11target_archE1201ELNS1_3gpuE5ELNS1_3repE0EEENS1_30default_config_static_selectorELNS0_4arch9wavefront6targetE0EEEvSF_
; %bb.0:
	.section	.rodata,"a",@progbits
	.p2align	6, 0x0
	.amdhsa_kernel _ZN7rocprim17ROCPRIM_400000_NS6detail17trampoline_kernelINS0_14default_configENS1_22reduce_config_selectorI11minmax_pairIiEEEZNS1_11reduce_implILb1ES3_PS6_S9_S6_16minmax_binary_opIiEEE10hipError_tPvRmT1_T2_T3_mT4_P12ihipStream_tbEUlT_E1_NS1_11comp_targetILNS1_3genE10ELNS1_11target_archE1201ELNS1_3gpuE5ELNS1_3repE0EEENS1_30default_config_static_selectorELNS0_4arch9wavefront6targetE0EEEvSF_
		.amdhsa_group_segment_fixed_size 0
		.amdhsa_private_segment_fixed_size 0
		.amdhsa_kernarg_size 48
		.amdhsa_user_sgpr_count 2
		.amdhsa_user_sgpr_dispatch_ptr 0
		.amdhsa_user_sgpr_queue_ptr 0
		.amdhsa_user_sgpr_kernarg_segment_ptr 1
		.amdhsa_user_sgpr_dispatch_id 0
		.amdhsa_user_sgpr_kernarg_preload_length 0
		.amdhsa_user_sgpr_kernarg_preload_offset 0
		.amdhsa_user_sgpr_private_segment_size 0
		.amdhsa_wavefront_size32 1
		.amdhsa_uses_dynamic_stack 0
		.amdhsa_enable_private_segment 0
		.amdhsa_system_sgpr_workgroup_id_x 1
		.amdhsa_system_sgpr_workgroup_id_y 0
		.amdhsa_system_sgpr_workgroup_id_z 0
		.amdhsa_system_sgpr_workgroup_info 0
		.amdhsa_system_vgpr_workitem_id 0
		.amdhsa_next_free_vgpr 1
		.amdhsa_next_free_sgpr 1
		.amdhsa_named_barrier_count 0
		.amdhsa_reserve_vcc 0
		.amdhsa_float_round_mode_32 0
		.amdhsa_float_round_mode_16_64 0
		.amdhsa_float_denorm_mode_32 3
		.amdhsa_float_denorm_mode_16_64 3
		.amdhsa_fp16_overflow 0
		.amdhsa_memory_ordered 1
		.amdhsa_forward_progress 1
		.amdhsa_inst_pref_size 0
		.amdhsa_round_robin_scheduling 0
		.amdhsa_exception_fp_ieee_invalid_op 0
		.amdhsa_exception_fp_denorm_src 0
		.amdhsa_exception_fp_ieee_div_zero 0
		.amdhsa_exception_fp_ieee_overflow 0
		.amdhsa_exception_fp_ieee_underflow 0
		.amdhsa_exception_fp_ieee_inexact 0
		.amdhsa_exception_int_div_zero 0
	.end_amdhsa_kernel
	.section	.text._ZN7rocprim17ROCPRIM_400000_NS6detail17trampoline_kernelINS0_14default_configENS1_22reduce_config_selectorI11minmax_pairIiEEEZNS1_11reduce_implILb1ES3_PS6_S9_S6_16minmax_binary_opIiEEE10hipError_tPvRmT1_T2_T3_mT4_P12ihipStream_tbEUlT_E1_NS1_11comp_targetILNS1_3genE10ELNS1_11target_archE1201ELNS1_3gpuE5ELNS1_3repE0EEENS1_30default_config_static_selectorELNS0_4arch9wavefront6targetE0EEEvSF_,"axG",@progbits,_ZN7rocprim17ROCPRIM_400000_NS6detail17trampoline_kernelINS0_14default_configENS1_22reduce_config_selectorI11minmax_pairIiEEEZNS1_11reduce_implILb1ES3_PS6_S9_S6_16minmax_binary_opIiEEE10hipError_tPvRmT1_T2_T3_mT4_P12ihipStream_tbEUlT_E1_NS1_11comp_targetILNS1_3genE10ELNS1_11target_archE1201ELNS1_3gpuE5ELNS1_3repE0EEENS1_30default_config_static_selectorELNS0_4arch9wavefront6targetE0EEEvSF_,comdat
.Lfunc_end15:
	.size	_ZN7rocprim17ROCPRIM_400000_NS6detail17trampoline_kernelINS0_14default_configENS1_22reduce_config_selectorI11minmax_pairIiEEEZNS1_11reduce_implILb1ES3_PS6_S9_S6_16minmax_binary_opIiEEE10hipError_tPvRmT1_T2_T3_mT4_P12ihipStream_tbEUlT_E1_NS1_11comp_targetILNS1_3genE10ELNS1_11target_archE1201ELNS1_3gpuE5ELNS1_3repE0EEENS1_30default_config_static_selectorELNS0_4arch9wavefront6targetE0EEEvSF_, .Lfunc_end15-_ZN7rocprim17ROCPRIM_400000_NS6detail17trampoline_kernelINS0_14default_configENS1_22reduce_config_selectorI11minmax_pairIiEEEZNS1_11reduce_implILb1ES3_PS6_S9_S6_16minmax_binary_opIiEEE10hipError_tPvRmT1_T2_T3_mT4_P12ihipStream_tbEUlT_E1_NS1_11comp_targetILNS1_3genE10ELNS1_11target_archE1201ELNS1_3gpuE5ELNS1_3repE0EEENS1_30default_config_static_selectorELNS0_4arch9wavefront6targetE0EEEvSF_
                                        ; -- End function
	.set _ZN7rocprim17ROCPRIM_400000_NS6detail17trampoline_kernelINS0_14default_configENS1_22reduce_config_selectorI11minmax_pairIiEEEZNS1_11reduce_implILb1ES3_PS6_S9_S6_16minmax_binary_opIiEEE10hipError_tPvRmT1_T2_T3_mT4_P12ihipStream_tbEUlT_E1_NS1_11comp_targetILNS1_3genE10ELNS1_11target_archE1201ELNS1_3gpuE5ELNS1_3repE0EEENS1_30default_config_static_selectorELNS0_4arch9wavefront6targetE0EEEvSF_.num_vgpr, 0
	.set _ZN7rocprim17ROCPRIM_400000_NS6detail17trampoline_kernelINS0_14default_configENS1_22reduce_config_selectorI11minmax_pairIiEEEZNS1_11reduce_implILb1ES3_PS6_S9_S6_16minmax_binary_opIiEEE10hipError_tPvRmT1_T2_T3_mT4_P12ihipStream_tbEUlT_E1_NS1_11comp_targetILNS1_3genE10ELNS1_11target_archE1201ELNS1_3gpuE5ELNS1_3repE0EEENS1_30default_config_static_selectorELNS0_4arch9wavefront6targetE0EEEvSF_.num_agpr, 0
	.set _ZN7rocprim17ROCPRIM_400000_NS6detail17trampoline_kernelINS0_14default_configENS1_22reduce_config_selectorI11minmax_pairIiEEEZNS1_11reduce_implILb1ES3_PS6_S9_S6_16minmax_binary_opIiEEE10hipError_tPvRmT1_T2_T3_mT4_P12ihipStream_tbEUlT_E1_NS1_11comp_targetILNS1_3genE10ELNS1_11target_archE1201ELNS1_3gpuE5ELNS1_3repE0EEENS1_30default_config_static_selectorELNS0_4arch9wavefront6targetE0EEEvSF_.numbered_sgpr, 0
	.set _ZN7rocprim17ROCPRIM_400000_NS6detail17trampoline_kernelINS0_14default_configENS1_22reduce_config_selectorI11minmax_pairIiEEEZNS1_11reduce_implILb1ES3_PS6_S9_S6_16minmax_binary_opIiEEE10hipError_tPvRmT1_T2_T3_mT4_P12ihipStream_tbEUlT_E1_NS1_11comp_targetILNS1_3genE10ELNS1_11target_archE1201ELNS1_3gpuE5ELNS1_3repE0EEENS1_30default_config_static_selectorELNS0_4arch9wavefront6targetE0EEEvSF_.num_named_barrier, 0
	.set _ZN7rocprim17ROCPRIM_400000_NS6detail17trampoline_kernelINS0_14default_configENS1_22reduce_config_selectorI11minmax_pairIiEEEZNS1_11reduce_implILb1ES3_PS6_S9_S6_16minmax_binary_opIiEEE10hipError_tPvRmT1_T2_T3_mT4_P12ihipStream_tbEUlT_E1_NS1_11comp_targetILNS1_3genE10ELNS1_11target_archE1201ELNS1_3gpuE5ELNS1_3repE0EEENS1_30default_config_static_selectorELNS0_4arch9wavefront6targetE0EEEvSF_.private_seg_size, 0
	.set _ZN7rocprim17ROCPRIM_400000_NS6detail17trampoline_kernelINS0_14default_configENS1_22reduce_config_selectorI11minmax_pairIiEEEZNS1_11reduce_implILb1ES3_PS6_S9_S6_16minmax_binary_opIiEEE10hipError_tPvRmT1_T2_T3_mT4_P12ihipStream_tbEUlT_E1_NS1_11comp_targetILNS1_3genE10ELNS1_11target_archE1201ELNS1_3gpuE5ELNS1_3repE0EEENS1_30default_config_static_selectorELNS0_4arch9wavefront6targetE0EEEvSF_.uses_vcc, 0
	.set _ZN7rocprim17ROCPRIM_400000_NS6detail17trampoline_kernelINS0_14default_configENS1_22reduce_config_selectorI11minmax_pairIiEEEZNS1_11reduce_implILb1ES3_PS6_S9_S6_16minmax_binary_opIiEEE10hipError_tPvRmT1_T2_T3_mT4_P12ihipStream_tbEUlT_E1_NS1_11comp_targetILNS1_3genE10ELNS1_11target_archE1201ELNS1_3gpuE5ELNS1_3repE0EEENS1_30default_config_static_selectorELNS0_4arch9wavefront6targetE0EEEvSF_.uses_flat_scratch, 0
	.set _ZN7rocprim17ROCPRIM_400000_NS6detail17trampoline_kernelINS0_14default_configENS1_22reduce_config_selectorI11minmax_pairIiEEEZNS1_11reduce_implILb1ES3_PS6_S9_S6_16minmax_binary_opIiEEE10hipError_tPvRmT1_T2_T3_mT4_P12ihipStream_tbEUlT_E1_NS1_11comp_targetILNS1_3genE10ELNS1_11target_archE1201ELNS1_3gpuE5ELNS1_3repE0EEENS1_30default_config_static_selectorELNS0_4arch9wavefront6targetE0EEEvSF_.has_dyn_sized_stack, 0
	.set _ZN7rocprim17ROCPRIM_400000_NS6detail17trampoline_kernelINS0_14default_configENS1_22reduce_config_selectorI11minmax_pairIiEEEZNS1_11reduce_implILb1ES3_PS6_S9_S6_16minmax_binary_opIiEEE10hipError_tPvRmT1_T2_T3_mT4_P12ihipStream_tbEUlT_E1_NS1_11comp_targetILNS1_3genE10ELNS1_11target_archE1201ELNS1_3gpuE5ELNS1_3repE0EEENS1_30default_config_static_selectorELNS0_4arch9wavefront6targetE0EEEvSF_.has_recursion, 0
	.set _ZN7rocprim17ROCPRIM_400000_NS6detail17trampoline_kernelINS0_14default_configENS1_22reduce_config_selectorI11minmax_pairIiEEEZNS1_11reduce_implILb1ES3_PS6_S9_S6_16minmax_binary_opIiEEE10hipError_tPvRmT1_T2_T3_mT4_P12ihipStream_tbEUlT_E1_NS1_11comp_targetILNS1_3genE10ELNS1_11target_archE1201ELNS1_3gpuE5ELNS1_3repE0EEENS1_30default_config_static_selectorELNS0_4arch9wavefront6targetE0EEEvSF_.has_indirect_call, 0
	.section	.AMDGPU.csdata,"",@progbits
; Kernel info:
; codeLenInByte = 0
; TotalNumSgprs: 0
; NumVgprs: 0
; ScratchSize: 0
; MemoryBound: 0
; FloatMode: 240
; IeeeMode: 1
; LDSByteSize: 0 bytes/workgroup (compile time only)
; SGPRBlocks: 0
; VGPRBlocks: 0
; NumSGPRsForWavesPerEU: 1
; NumVGPRsForWavesPerEU: 1
; NamedBarCnt: 0
; Occupancy: 16
; WaveLimiterHint : 0
; COMPUTE_PGM_RSRC2:SCRATCH_EN: 0
; COMPUTE_PGM_RSRC2:USER_SGPR: 2
; COMPUTE_PGM_RSRC2:TRAP_HANDLER: 0
; COMPUTE_PGM_RSRC2:TGID_X_EN: 1
; COMPUTE_PGM_RSRC2:TGID_Y_EN: 0
; COMPUTE_PGM_RSRC2:TGID_Z_EN: 0
; COMPUTE_PGM_RSRC2:TIDIG_COMP_CNT: 0
	.section	.text._ZN7rocprim17ROCPRIM_400000_NS6detail17trampoline_kernelINS0_14default_configENS1_22reduce_config_selectorI11minmax_pairIiEEEZNS1_11reduce_implILb1ES3_PS6_S9_S6_16minmax_binary_opIiEEE10hipError_tPvRmT1_T2_T3_mT4_P12ihipStream_tbEUlT_E1_NS1_11comp_targetILNS1_3genE10ELNS1_11target_archE1200ELNS1_3gpuE4ELNS1_3repE0EEENS1_30default_config_static_selectorELNS0_4arch9wavefront6targetE0EEEvSF_,"axG",@progbits,_ZN7rocprim17ROCPRIM_400000_NS6detail17trampoline_kernelINS0_14default_configENS1_22reduce_config_selectorI11minmax_pairIiEEEZNS1_11reduce_implILb1ES3_PS6_S9_S6_16minmax_binary_opIiEEE10hipError_tPvRmT1_T2_T3_mT4_P12ihipStream_tbEUlT_E1_NS1_11comp_targetILNS1_3genE10ELNS1_11target_archE1200ELNS1_3gpuE4ELNS1_3repE0EEENS1_30default_config_static_selectorELNS0_4arch9wavefront6targetE0EEEvSF_,comdat
	.protected	_ZN7rocprim17ROCPRIM_400000_NS6detail17trampoline_kernelINS0_14default_configENS1_22reduce_config_selectorI11minmax_pairIiEEEZNS1_11reduce_implILb1ES3_PS6_S9_S6_16minmax_binary_opIiEEE10hipError_tPvRmT1_T2_T3_mT4_P12ihipStream_tbEUlT_E1_NS1_11comp_targetILNS1_3genE10ELNS1_11target_archE1200ELNS1_3gpuE4ELNS1_3repE0EEENS1_30default_config_static_selectorELNS0_4arch9wavefront6targetE0EEEvSF_ ; -- Begin function _ZN7rocprim17ROCPRIM_400000_NS6detail17trampoline_kernelINS0_14default_configENS1_22reduce_config_selectorI11minmax_pairIiEEEZNS1_11reduce_implILb1ES3_PS6_S9_S6_16minmax_binary_opIiEEE10hipError_tPvRmT1_T2_T3_mT4_P12ihipStream_tbEUlT_E1_NS1_11comp_targetILNS1_3genE10ELNS1_11target_archE1200ELNS1_3gpuE4ELNS1_3repE0EEENS1_30default_config_static_selectorELNS0_4arch9wavefront6targetE0EEEvSF_
	.globl	_ZN7rocprim17ROCPRIM_400000_NS6detail17trampoline_kernelINS0_14default_configENS1_22reduce_config_selectorI11minmax_pairIiEEEZNS1_11reduce_implILb1ES3_PS6_S9_S6_16minmax_binary_opIiEEE10hipError_tPvRmT1_T2_T3_mT4_P12ihipStream_tbEUlT_E1_NS1_11comp_targetILNS1_3genE10ELNS1_11target_archE1200ELNS1_3gpuE4ELNS1_3repE0EEENS1_30default_config_static_selectorELNS0_4arch9wavefront6targetE0EEEvSF_
	.p2align	8
	.type	_ZN7rocprim17ROCPRIM_400000_NS6detail17trampoline_kernelINS0_14default_configENS1_22reduce_config_selectorI11minmax_pairIiEEEZNS1_11reduce_implILb1ES3_PS6_S9_S6_16minmax_binary_opIiEEE10hipError_tPvRmT1_T2_T3_mT4_P12ihipStream_tbEUlT_E1_NS1_11comp_targetILNS1_3genE10ELNS1_11target_archE1200ELNS1_3gpuE4ELNS1_3repE0EEENS1_30default_config_static_selectorELNS0_4arch9wavefront6targetE0EEEvSF_,@function
_ZN7rocprim17ROCPRIM_400000_NS6detail17trampoline_kernelINS0_14default_configENS1_22reduce_config_selectorI11minmax_pairIiEEEZNS1_11reduce_implILb1ES3_PS6_S9_S6_16minmax_binary_opIiEEE10hipError_tPvRmT1_T2_T3_mT4_P12ihipStream_tbEUlT_E1_NS1_11comp_targetILNS1_3genE10ELNS1_11target_archE1200ELNS1_3gpuE4ELNS1_3repE0EEENS1_30default_config_static_selectorELNS0_4arch9wavefront6targetE0EEEvSF_: ; @_ZN7rocprim17ROCPRIM_400000_NS6detail17trampoline_kernelINS0_14default_configENS1_22reduce_config_selectorI11minmax_pairIiEEEZNS1_11reduce_implILb1ES3_PS6_S9_S6_16minmax_binary_opIiEEE10hipError_tPvRmT1_T2_T3_mT4_P12ihipStream_tbEUlT_E1_NS1_11comp_targetILNS1_3genE10ELNS1_11target_archE1200ELNS1_3gpuE4ELNS1_3repE0EEENS1_30default_config_static_selectorELNS0_4arch9wavefront6targetE0EEEvSF_
; %bb.0:
	.section	.rodata,"a",@progbits
	.p2align	6, 0x0
	.amdhsa_kernel _ZN7rocprim17ROCPRIM_400000_NS6detail17trampoline_kernelINS0_14default_configENS1_22reduce_config_selectorI11minmax_pairIiEEEZNS1_11reduce_implILb1ES3_PS6_S9_S6_16minmax_binary_opIiEEE10hipError_tPvRmT1_T2_T3_mT4_P12ihipStream_tbEUlT_E1_NS1_11comp_targetILNS1_3genE10ELNS1_11target_archE1200ELNS1_3gpuE4ELNS1_3repE0EEENS1_30default_config_static_selectorELNS0_4arch9wavefront6targetE0EEEvSF_
		.amdhsa_group_segment_fixed_size 0
		.amdhsa_private_segment_fixed_size 0
		.amdhsa_kernarg_size 48
		.amdhsa_user_sgpr_count 2
		.amdhsa_user_sgpr_dispatch_ptr 0
		.amdhsa_user_sgpr_queue_ptr 0
		.amdhsa_user_sgpr_kernarg_segment_ptr 1
		.amdhsa_user_sgpr_dispatch_id 0
		.amdhsa_user_sgpr_kernarg_preload_length 0
		.amdhsa_user_sgpr_kernarg_preload_offset 0
		.amdhsa_user_sgpr_private_segment_size 0
		.amdhsa_wavefront_size32 1
		.amdhsa_uses_dynamic_stack 0
		.amdhsa_enable_private_segment 0
		.amdhsa_system_sgpr_workgroup_id_x 1
		.amdhsa_system_sgpr_workgroup_id_y 0
		.amdhsa_system_sgpr_workgroup_id_z 0
		.amdhsa_system_sgpr_workgroup_info 0
		.amdhsa_system_vgpr_workitem_id 0
		.amdhsa_next_free_vgpr 1
		.amdhsa_next_free_sgpr 1
		.amdhsa_named_barrier_count 0
		.amdhsa_reserve_vcc 0
		.amdhsa_float_round_mode_32 0
		.amdhsa_float_round_mode_16_64 0
		.amdhsa_float_denorm_mode_32 3
		.amdhsa_float_denorm_mode_16_64 3
		.amdhsa_fp16_overflow 0
		.amdhsa_memory_ordered 1
		.amdhsa_forward_progress 1
		.amdhsa_inst_pref_size 0
		.amdhsa_round_robin_scheduling 0
		.amdhsa_exception_fp_ieee_invalid_op 0
		.amdhsa_exception_fp_denorm_src 0
		.amdhsa_exception_fp_ieee_div_zero 0
		.amdhsa_exception_fp_ieee_overflow 0
		.amdhsa_exception_fp_ieee_underflow 0
		.amdhsa_exception_fp_ieee_inexact 0
		.amdhsa_exception_int_div_zero 0
	.end_amdhsa_kernel
	.section	.text._ZN7rocprim17ROCPRIM_400000_NS6detail17trampoline_kernelINS0_14default_configENS1_22reduce_config_selectorI11minmax_pairIiEEEZNS1_11reduce_implILb1ES3_PS6_S9_S6_16minmax_binary_opIiEEE10hipError_tPvRmT1_T2_T3_mT4_P12ihipStream_tbEUlT_E1_NS1_11comp_targetILNS1_3genE10ELNS1_11target_archE1200ELNS1_3gpuE4ELNS1_3repE0EEENS1_30default_config_static_selectorELNS0_4arch9wavefront6targetE0EEEvSF_,"axG",@progbits,_ZN7rocprim17ROCPRIM_400000_NS6detail17trampoline_kernelINS0_14default_configENS1_22reduce_config_selectorI11minmax_pairIiEEEZNS1_11reduce_implILb1ES3_PS6_S9_S6_16minmax_binary_opIiEEE10hipError_tPvRmT1_T2_T3_mT4_P12ihipStream_tbEUlT_E1_NS1_11comp_targetILNS1_3genE10ELNS1_11target_archE1200ELNS1_3gpuE4ELNS1_3repE0EEENS1_30default_config_static_selectorELNS0_4arch9wavefront6targetE0EEEvSF_,comdat
.Lfunc_end16:
	.size	_ZN7rocprim17ROCPRIM_400000_NS6detail17trampoline_kernelINS0_14default_configENS1_22reduce_config_selectorI11minmax_pairIiEEEZNS1_11reduce_implILb1ES3_PS6_S9_S6_16minmax_binary_opIiEEE10hipError_tPvRmT1_T2_T3_mT4_P12ihipStream_tbEUlT_E1_NS1_11comp_targetILNS1_3genE10ELNS1_11target_archE1200ELNS1_3gpuE4ELNS1_3repE0EEENS1_30default_config_static_selectorELNS0_4arch9wavefront6targetE0EEEvSF_, .Lfunc_end16-_ZN7rocprim17ROCPRIM_400000_NS6detail17trampoline_kernelINS0_14default_configENS1_22reduce_config_selectorI11minmax_pairIiEEEZNS1_11reduce_implILb1ES3_PS6_S9_S6_16minmax_binary_opIiEEE10hipError_tPvRmT1_T2_T3_mT4_P12ihipStream_tbEUlT_E1_NS1_11comp_targetILNS1_3genE10ELNS1_11target_archE1200ELNS1_3gpuE4ELNS1_3repE0EEENS1_30default_config_static_selectorELNS0_4arch9wavefront6targetE0EEEvSF_
                                        ; -- End function
	.set _ZN7rocprim17ROCPRIM_400000_NS6detail17trampoline_kernelINS0_14default_configENS1_22reduce_config_selectorI11minmax_pairIiEEEZNS1_11reduce_implILb1ES3_PS6_S9_S6_16minmax_binary_opIiEEE10hipError_tPvRmT1_T2_T3_mT4_P12ihipStream_tbEUlT_E1_NS1_11comp_targetILNS1_3genE10ELNS1_11target_archE1200ELNS1_3gpuE4ELNS1_3repE0EEENS1_30default_config_static_selectorELNS0_4arch9wavefront6targetE0EEEvSF_.num_vgpr, 0
	.set _ZN7rocprim17ROCPRIM_400000_NS6detail17trampoline_kernelINS0_14default_configENS1_22reduce_config_selectorI11minmax_pairIiEEEZNS1_11reduce_implILb1ES3_PS6_S9_S6_16minmax_binary_opIiEEE10hipError_tPvRmT1_T2_T3_mT4_P12ihipStream_tbEUlT_E1_NS1_11comp_targetILNS1_3genE10ELNS1_11target_archE1200ELNS1_3gpuE4ELNS1_3repE0EEENS1_30default_config_static_selectorELNS0_4arch9wavefront6targetE0EEEvSF_.num_agpr, 0
	.set _ZN7rocprim17ROCPRIM_400000_NS6detail17trampoline_kernelINS0_14default_configENS1_22reduce_config_selectorI11minmax_pairIiEEEZNS1_11reduce_implILb1ES3_PS6_S9_S6_16minmax_binary_opIiEEE10hipError_tPvRmT1_T2_T3_mT4_P12ihipStream_tbEUlT_E1_NS1_11comp_targetILNS1_3genE10ELNS1_11target_archE1200ELNS1_3gpuE4ELNS1_3repE0EEENS1_30default_config_static_selectorELNS0_4arch9wavefront6targetE0EEEvSF_.numbered_sgpr, 0
	.set _ZN7rocprim17ROCPRIM_400000_NS6detail17trampoline_kernelINS0_14default_configENS1_22reduce_config_selectorI11minmax_pairIiEEEZNS1_11reduce_implILb1ES3_PS6_S9_S6_16minmax_binary_opIiEEE10hipError_tPvRmT1_T2_T3_mT4_P12ihipStream_tbEUlT_E1_NS1_11comp_targetILNS1_3genE10ELNS1_11target_archE1200ELNS1_3gpuE4ELNS1_3repE0EEENS1_30default_config_static_selectorELNS0_4arch9wavefront6targetE0EEEvSF_.num_named_barrier, 0
	.set _ZN7rocprim17ROCPRIM_400000_NS6detail17trampoline_kernelINS0_14default_configENS1_22reduce_config_selectorI11minmax_pairIiEEEZNS1_11reduce_implILb1ES3_PS6_S9_S6_16minmax_binary_opIiEEE10hipError_tPvRmT1_T2_T3_mT4_P12ihipStream_tbEUlT_E1_NS1_11comp_targetILNS1_3genE10ELNS1_11target_archE1200ELNS1_3gpuE4ELNS1_3repE0EEENS1_30default_config_static_selectorELNS0_4arch9wavefront6targetE0EEEvSF_.private_seg_size, 0
	.set _ZN7rocprim17ROCPRIM_400000_NS6detail17trampoline_kernelINS0_14default_configENS1_22reduce_config_selectorI11minmax_pairIiEEEZNS1_11reduce_implILb1ES3_PS6_S9_S6_16minmax_binary_opIiEEE10hipError_tPvRmT1_T2_T3_mT4_P12ihipStream_tbEUlT_E1_NS1_11comp_targetILNS1_3genE10ELNS1_11target_archE1200ELNS1_3gpuE4ELNS1_3repE0EEENS1_30default_config_static_selectorELNS0_4arch9wavefront6targetE0EEEvSF_.uses_vcc, 0
	.set _ZN7rocprim17ROCPRIM_400000_NS6detail17trampoline_kernelINS0_14default_configENS1_22reduce_config_selectorI11minmax_pairIiEEEZNS1_11reduce_implILb1ES3_PS6_S9_S6_16minmax_binary_opIiEEE10hipError_tPvRmT1_T2_T3_mT4_P12ihipStream_tbEUlT_E1_NS1_11comp_targetILNS1_3genE10ELNS1_11target_archE1200ELNS1_3gpuE4ELNS1_3repE0EEENS1_30default_config_static_selectorELNS0_4arch9wavefront6targetE0EEEvSF_.uses_flat_scratch, 0
	.set _ZN7rocprim17ROCPRIM_400000_NS6detail17trampoline_kernelINS0_14default_configENS1_22reduce_config_selectorI11minmax_pairIiEEEZNS1_11reduce_implILb1ES3_PS6_S9_S6_16minmax_binary_opIiEEE10hipError_tPvRmT1_T2_T3_mT4_P12ihipStream_tbEUlT_E1_NS1_11comp_targetILNS1_3genE10ELNS1_11target_archE1200ELNS1_3gpuE4ELNS1_3repE0EEENS1_30default_config_static_selectorELNS0_4arch9wavefront6targetE0EEEvSF_.has_dyn_sized_stack, 0
	.set _ZN7rocprim17ROCPRIM_400000_NS6detail17trampoline_kernelINS0_14default_configENS1_22reduce_config_selectorI11minmax_pairIiEEEZNS1_11reduce_implILb1ES3_PS6_S9_S6_16minmax_binary_opIiEEE10hipError_tPvRmT1_T2_T3_mT4_P12ihipStream_tbEUlT_E1_NS1_11comp_targetILNS1_3genE10ELNS1_11target_archE1200ELNS1_3gpuE4ELNS1_3repE0EEENS1_30default_config_static_selectorELNS0_4arch9wavefront6targetE0EEEvSF_.has_recursion, 0
	.set _ZN7rocprim17ROCPRIM_400000_NS6detail17trampoline_kernelINS0_14default_configENS1_22reduce_config_selectorI11minmax_pairIiEEEZNS1_11reduce_implILb1ES3_PS6_S9_S6_16minmax_binary_opIiEEE10hipError_tPvRmT1_T2_T3_mT4_P12ihipStream_tbEUlT_E1_NS1_11comp_targetILNS1_3genE10ELNS1_11target_archE1200ELNS1_3gpuE4ELNS1_3repE0EEENS1_30default_config_static_selectorELNS0_4arch9wavefront6targetE0EEEvSF_.has_indirect_call, 0
	.section	.AMDGPU.csdata,"",@progbits
; Kernel info:
; codeLenInByte = 0
; TotalNumSgprs: 0
; NumVgprs: 0
; ScratchSize: 0
; MemoryBound: 0
; FloatMode: 240
; IeeeMode: 1
; LDSByteSize: 0 bytes/workgroup (compile time only)
; SGPRBlocks: 0
; VGPRBlocks: 0
; NumSGPRsForWavesPerEU: 1
; NumVGPRsForWavesPerEU: 1
; NamedBarCnt: 0
; Occupancy: 16
; WaveLimiterHint : 0
; COMPUTE_PGM_RSRC2:SCRATCH_EN: 0
; COMPUTE_PGM_RSRC2:USER_SGPR: 2
; COMPUTE_PGM_RSRC2:TRAP_HANDLER: 0
; COMPUTE_PGM_RSRC2:TGID_X_EN: 1
; COMPUTE_PGM_RSRC2:TGID_Y_EN: 0
; COMPUTE_PGM_RSRC2:TGID_Z_EN: 0
; COMPUTE_PGM_RSRC2:TIDIG_COMP_CNT: 0
	.section	.text._ZN7rocprim17ROCPRIM_400000_NS6detail17trampoline_kernelINS0_14default_configENS1_22reduce_config_selectorI11minmax_pairIiEEEZNS1_11reduce_implILb1ES3_PS6_S9_S6_16minmax_binary_opIiEEE10hipError_tPvRmT1_T2_T3_mT4_P12ihipStream_tbEUlT_E1_NS1_11comp_targetILNS1_3genE9ELNS1_11target_archE1100ELNS1_3gpuE3ELNS1_3repE0EEENS1_30default_config_static_selectorELNS0_4arch9wavefront6targetE0EEEvSF_,"axG",@progbits,_ZN7rocprim17ROCPRIM_400000_NS6detail17trampoline_kernelINS0_14default_configENS1_22reduce_config_selectorI11minmax_pairIiEEEZNS1_11reduce_implILb1ES3_PS6_S9_S6_16minmax_binary_opIiEEE10hipError_tPvRmT1_T2_T3_mT4_P12ihipStream_tbEUlT_E1_NS1_11comp_targetILNS1_3genE9ELNS1_11target_archE1100ELNS1_3gpuE3ELNS1_3repE0EEENS1_30default_config_static_selectorELNS0_4arch9wavefront6targetE0EEEvSF_,comdat
	.protected	_ZN7rocprim17ROCPRIM_400000_NS6detail17trampoline_kernelINS0_14default_configENS1_22reduce_config_selectorI11minmax_pairIiEEEZNS1_11reduce_implILb1ES3_PS6_S9_S6_16minmax_binary_opIiEEE10hipError_tPvRmT1_T2_T3_mT4_P12ihipStream_tbEUlT_E1_NS1_11comp_targetILNS1_3genE9ELNS1_11target_archE1100ELNS1_3gpuE3ELNS1_3repE0EEENS1_30default_config_static_selectorELNS0_4arch9wavefront6targetE0EEEvSF_ ; -- Begin function _ZN7rocprim17ROCPRIM_400000_NS6detail17trampoline_kernelINS0_14default_configENS1_22reduce_config_selectorI11minmax_pairIiEEEZNS1_11reduce_implILb1ES3_PS6_S9_S6_16minmax_binary_opIiEEE10hipError_tPvRmT1_T2_T3_mT4_P12ihipStream_tbEUlT_E1_NS1_11comp_targetILNS1_3genE9ELNS1_11target_archE1100ELNS1_3gpuE3ELNS1_3repE0EEENS1_30default_config_static_selectorELNS0_4arch9wavefront6targetE0EEEvSF_
	.globl	_ZN7rocprim17ROCPRIM_400000_NS6detail17trampoline_kernelINS0_14default_configENS1_22reduce_config_selectorI11minmax_pairIiEEEZNS1_11reduce_implILb1ES3_PS6_S9_S6_16minmax_binary_opIiEEE10hipError_tPvRmT1_T2_T3_mT4_P12ihipStream_tbEUlT_E1_NS1_11comp_targetILNS1_3genE9ELNS1_11target_archE1100ELNS1_3gpuE3ELNS1_3repE0EEENS1_30default_config_static_selectorELNS0_4arch9wavefront6targetE0EEEvSF_
	.p2align	8
	.type	_ZN7rocprim17ROCPRIM_400000_NS6detail17trampoline_kernelINS0_14default_configENS1_22reduce_config_selectorI11minmax_pairIiEEEZNS1_11reduce_implILb1ES3_PS6_S9_S6_16minmax_binary_opIiEEE10hipError_tPvRmT1_T2_T3_mT4_P12ihipStream_tbEUlT_E1_NS1_11comp_targetILNS1_3genE9ELNS1_11target_archE1100ELNS1_3gpuE3ELNS1_3repE0EEENS1_30default_config_static_selectorELNS0_4arch9wavefront6targetE0EEEvSF_,@function
_ZN7rocprim17ROCPRIM_400000_NS6detail17trampoline_kernelINS0_14default_configENS1_22reduce_config_selectorI11minmax_pairIiEEEZNS1_11reduce_implILb1ES3_PS6_S9_S6_16minmax_binary_opIiEEE10hipError_tPvRmT1_T2_T3_mT4_P12ihipStream_tbEUlT_E1_NS1_11comp_targetILNS1_3genE9ELNS1_11target_archE1100ELNS1_3gpuE3ELNS1_3repE0EEENS1_30default_config_static_selectorELNS0_4arch9wavefront6targetE0EEEvSF_: ; @_ZN7rocprim17ROCPRIM_400000_NS6detail17trampoline_kernelINS0_14default_configENS1_22reduce_config_selectorI11minmax_pairIiEEEZNS1_11reduce_implILb1ES3_PS6_S9_S6_16minmax_binary_opIiEEE10hipError_tPvRmT1_T2_T3_mT4_P12ihipStream_tbEUlT_E1_NS1_11comp_targetILNS1_3genE9ELNS1_11target_archE1100ELNS1_3gpuE3ELNS1_3repE0EEENS1_30default_config_static_selectorELNS0_4arch9wavefront6targetE0EEEvSF_
; %bb.0:
	.section	.rodata,"a",@progbits
	.p2align	6, 0x0
	.amdhsa_kernel _ZN7rocprim17ROCPRIM_400000_NS6detail17trampoline_kernelINS0_14default_configENS1_22reduce_config_selectorI11minmax_pairIiEEEZNS1_11reduce_implILb1ES3_PS6_S9_S6_16minmax_binary_opIiEEE10hipError_tPvRmT1_T2_T3_mT4_P12ihipStream_tbEUlT_E1_NS1_11comp_targetILNS1_3genE9ELNS1_11target_archE1100ELNS1_3gpuE3ELNS1_3repE0EEENS1_30default_config_static_selectorELNS0_4arch9wavefront6targetE0EEEvSF_
		.amdhsa_group_segment_fixed_size 0
		.amdhsa_private_segment_fixed_size 0
		.amdhsa_kernarg_size 48
		.amdhsa_user_sgpr_count 2
		.amdhsa_user_sgpr_dispatch_ptr 0
		.amdhsa_user_sgpr_queue_ptr 0
		.amdhsa_user_sgpr_kernarg_segment_ptr 1
		.amdhsa_user_sgpr_dispatch_id 0
		.amdhsa_user_sgpr_kernarg_preload_length 0
		.amdhsa_user_sgpr_kernarg_preload_offset 0
		.amdhsa_user_sgpr_private_segment_size 0
		.amdhsa_wavefront_size32 1
		.amdhsa_uses_dynamic_stack 0
		.amdhsa_enable_private_segment 0
		.amdhsa_system_sgpr_workgroup_id_x 1
		.amdhsa_system_sgpr_workgroup_id_y 0
		.amdhsa_system_sgpr_workgroup_id_z 0
		.amdhsa_system_sgpr_workgroup_info 0
		.amdhsa_system_vgpr_workitem_id 0
		.amdhsa_next_free_vgpr 1
		.amdhsa_next_free_sgpr 1
		.amdhsa_named_barrier_count 0
		.amdhsa_reserve_vcc 0
		.amdhsa_float_round_mode_32 0
		.amdhsa_float_round_mode_16_64 0
		.amdhsa_float_denorm_mode_32 3
		.amdhsa_float_denorm_mode_16_64 3
		.amdhsa_fp16_overflow 0
		.amdhsa_memory_ordered 1
		.amdhsa_forward_progress 1
		.amdhsa_inst_pref_size 0
		.amdhsa_round_robin_scheduling 0
		.amdhsa_exception_fp_ieee_invalid_op 0
		.amdhsa_exception_fp_denorm_src 0
		.amdhsa_exception_fp_ieee_div_zero 0
		.amdhsa_exception_fp_ieee_overflow 0
		.amdhsa_exception_fp_ieee_underflow 0
		.amdhsa_exception_fp_ieee_inexact 0
		.amdhsa_exception_int_div_zero 0
	.end_amdhsa_kernel
	.section	.text._ZN7rocprim17ROCPRIM_400000_NS6detail17trampoline_kernelINS0_14default_configENS1_22reduce_config_selectorI11minmax_pairIiEEEZNS1_11reduce_implILb1ES3_PS6_S9_S6_16minmax_binary_opIiEEE10hipError_tPvRmT1_T2_T3_mT4_P12ihipStream_tbEUlT_E1_NS1_11comp_targetILNS1_3genE9ELNS1_11target_archE1100ELNS1_3gpuE3ELNS1_3repE0EEENS1_30default_config_static_selectorELNS0_4arch9wavefront6targetE0EEEvSF_,"axG",@progbits,_ZN7rocprim17ROCPRIM_400000_NS6detail17trampoline_kernelINS0_14default_configENS1_22reduce_config_selectorI11minmax_pairIiEEEZNS1_11reduce_implILb1ES3_PS6_S9_S6_16minmax_binary_opIiEEE10hipError_tPvRmT1_T2_T3_mT4_P12ihipStream_tbEUlT_E1_NS1_11comp_targetILNS1_3genE9ELNS1_11target_archE1100ELNS1_3gpuE3ELNS1_3repE0EEENS1_30default_config_static_selectorELNS0_4arch9wavefront6targetE0EEEvSF_,comdat
.Lfunc_end17:
	.size	_ZN7rocprim17ROCPRIM_400000_NS6detail17trampoline_kernelINS0_14default_configENS1_22reduce_config_selectorI11minmax_pairIiEEEZNS1_11reduce_implILb1ES3_PS6_S9_S6_16minmax_binary_opIiEEE10hipError_tPvRmT1_T2_T3_mT4_P12ihipStream_tbEUlT_E1_NS1_11comp_targetILNS1_3genE9ELNS1_11target_archE1100ELNS1_3gpuE3ELNS1_3repE0EEENS1_30default_config_static_selectorELNS0_4arch9wavefront6targetE0EEEvSF_, .Lfunc_end17-_ZN7rocprim17ROCPRIM_400000_NS6detail17trampoline_kernelINS0_14default_configENS1_22reduce_config_selectorI11minmax_pairIiEEEZNS1_11reduce_implILb1ES3_PS6_S9_S6_16minmax_binary_opIiEEE10hipError_tPvRmT1_T2_T3_mT4_P12ihipStream_tbEUlT_E1_NS1_11comp_targetILNS1_3genE9ELNS1_11target_archE1100ELNS1_3gpuE3ELNS1_3repE0EEENS1_30default_config_static_selectorELNS0_4arch9wavefront6targetE0EEEvSF_
                                        ; -- End function
	.set _ZN7rocprim17ROCPRIM_400000_NS6detail17trampoline_kernelINS0_14default_configENS1_22reduce_config_selectorI11minmax_pairIiEEEZNS1_11reduce_implILb1ES3_PS6_S9_S6_16minmax_binary_opIiEEE10hipError_tPvRmT1_T2_T3_mT4_P12ihipStream_tbEUlT_E1_NS1_11comp_targetILNS1_3genE9ELNS1_11target_archE1100ELNS1_3gpuE3ELNS1_3repE0EEENS1_30default_config_static_selectorELNS0_4arch9wavefront6targetE0EEEvSF_.num_vgpr, 0
	.set _ZN7rocprim17ROCPRIM_400000_NS6detail17trampoline_kernelINS0_14default_configENS1_22reduce_config_selectorI11minmax_pairIiEEEZNS1_11reduce_implILb1ES3_PS6_S9_S6_16minmax_binary_opIiEEE10hipError_tPvRmT1_T2_T3_mT4_P12ihipStream_tbEUlT_E1_NS1_11comp_targetILNS1_3genE9ELNS1_11target_archE1100ELNS1_3gpuE3ELNS1_3repE0EEENS1_30default_config_static_selectorELNS0_4arch9wavefront6targetE0EEEvSF_.num_agpr, 0
	.set _ZN7rocprim17ROCPRIM_400000_NS6detail17trampoline_kernelINS0_14default_configENS1_22reduce_config_selectorI11minmax_pairIiEEEZNS1_11reduce_implILb1ES3_PS6_S9_S6_16minmax_binary_opIiEEE10hipError_tPvRmT1_T2_T3_mT4_P12ihipStream_tbEUlT_E1_NS1_11comp_targetILNS1_3genE9ELNS1_11target_archE1100ELNS1_3gpuE3ELNS1_3repE0EEENS1_30default_config_static_selectorELNS0_4arch9wavefront6targetE0EEEvSF_.numbered_sgpr, 0
	.set _ZN7rocprim17ROCPRIM_400000_NS6detail17trampoline_kernelINS0_14default_configENS1_22reduce_config_selectorI11minmax_pairIiEEEZNS1_11reduce_implILb1ES3_PS6_S9_S6_16minmax_binary_opIiEEE10hipError_tPvRmT1_T2_T3_mT4_P12ihipStream_tbEUlT_E1_NS1_11comp_targetILNS1_3genE9ELNS1_11target_archE1100ELNS1_3gpuE3ELNS1_3repE0EEENS1_30default_config_static_selectorELNS0_4arch9wavefront6targetE0EEEvSF_.num_named_barrier, 0
	.set _ZN7rocprim17ROCPRIM_400000_NS6detail17trampoline_kernelINS0_14default_configENS1_22reduce_config_selectorI11minmax_pairIiEEEZNS1_11reduce_implILb1ES3_PS6_S9_S6_16minmax_binary_opIiEEE10hipError_tPvRmT1_T2_T3_mT4_P12ihipStream_tbEUlT_E1_NS1_11comp_targetILNS1_3genE9ELNS1_11target_archE1100ELNS1_3gpuE3ELNS1_3repE0EEENS1_30default_config_static_selectorELNS0_4arch9wavefront6targetE0EEEvSF_.private_seg_size, 0
	.set _ZN7rocprim17ROCPRIM_400000_NS6detail17trampoline_kernelINS0_14default_configENS1_22reduce_config_selectorI11minmax_pairIiEEEZNS1_11reduce_implILb1ES3_PS6_S9_S6_16minmax_binary_opIiEEE10hipError_tPvRmT1_T2_T3_mT4_P12ihipStream_tbEUlT_E1_NS1_11comp_targetILNS1_3genE9ELNS1_11target_archE1100ELNS1_3gpuE3ELNS1_3repE0EEENS1_30default_config_static_selectorELNS0_4arch9wavefront6targetE0EEEvSF_.uses_vcc, 0
	.set _ZN7rocprim17ROCPRIM_400000_NS6detail17trampoline_kernelINS0_14default_configENS1_22reduce_config_selectorI11minmax_pairIiEEEZNS1_11reduce_implILb1ES3_PS6_S9_S6_16minmax_binary_opIiEEE10hipError_tPvRmT1_T2_T3_mT4_P12ihipStream_tbEUlT_E1_NS1_11comp_targetILNS1_3genE9ELNS1_11target_archE1100ELNS1_3gpuE3ELNS1_3repE0EEENS1_30default_config_static_selectorELNS0_4arch9wavefront6targetE0EEEvSF_.uses_flat_scratch, 0
	.set _ZN7rocprim17ROCPRIM_400000_NS6detail17trampoline_kernelINS0_14default_configENS1_22reduce_config_selectorI11minmax_pairIiEEEZNS1_11reduce_implILb1ES3_PS6_S9_S6_16minmax_binary_opIiEEE10hipError_tPvRmT1_T2_T3_mT4_P12ihipStream_tbEUlT_E1_NS1_11comp_targetILNS1_3genE9ELNS1_11target_archE1100ELNS1_3gpuE3ELNS1_3repE0EEENS1_30default_config_static_selectorELNS0_4arch9wavefront6targetE0EEEvSF_.has_dyn_sized_stack, 0
	.set _ZN7rocprim17ROCPRIM_400000_NS6detail17trampoline_kernelINS0_14default_configENS1_22reduce_config_selectorI11minmax_pairIiEEEZNS1_11reduce_implILb1ES3_PS6_S9_S6_16minmax_binary_opIiEEE10hipError_tPvRmT1_T2_T3_mT4_P12ihipStream_tbEUlT_E1_NS1_11comp_targetILNS1_3genE9ELNS1_11target_archE1100ELNS1_3gpuE3ELNS1_3repE0EEENS1_30default_config_static_selectorELNS0_4arch9wavefront6targetE0EEEvSF_.has_recursion, 0
	.set _ZN7rocprim17ROCPRIM_400000_NS6detail17trampoline_kernelINS0_14default_configENS1_22reduce_config_selectorI11minmax_pairIiEEEZNS1_11reduce_implILb1ES3_PS6_S9_S6_16minmax_binary_opIiEEE10hipError_tPvRmT1_T2_T3_mT4_P12ihipStream_tbEUlT_E1_NS1_11comp_targetILNS1_3genE9ELNS1_11target_archE1100ELNS1_3gpuE3ELNS1_3repE0EEENS1_30default_config_static_selectorELNS0_4arch9wavefront6targetE0EEEvSF_.has_indirect_call, 0
	.section	.AMDGPU.csdata,"",@progbits
; Kernel info:
; codeLenInByte = 0
; TotalNumSgprs: 0
; NumVgprs: 0
; ScratchSize: 0
; MemoryBound: 0
; FloatMode: 240
; IeeeMode: 1
; LDSByteSize: 0 bytes/workgroup (compile time only)
; SGPRBlocks: 0
; VGPRBlocks: 0
; NumSGPRsForWavesPerEU: 1
; NumVGPRsForWavesPerEU: 1
; NamedBarCnt: 0
; Occupancy: 16
; WaveLimiterHint : 0
; COMPUTE_PGM_RSRC2:SCRATCH_EN: 0
; COMPUTE_PGM_RSRC2:USER_SGPR: 2
; COMPUTE_PGM_RSRC2:TRAP_HANDLER: 0
; COMPUTE_PGM_RSRC2:TGID_X_EN: 1
; COMPUTE_PGM_RSRC2:TGID_Y_EN: 0
; COMPUTE_PGM_RSRC2:TGID_Z_EN: 0
; COMPUTE_PGM_RSRC2:TIDIG_COMP_CNT: 0
	.section	.text._ZN7rocprim17ROCPRIM_400000_NS6detail17trampoline_kernelINS0_14default_configENS1_22reduce_config_selectorI11minmax_pairIiEEEZNS1_11reduce_implILb1ES3_PS6_S9_S6_16minmax_binary_opIiEEE10hipError_tPvRmT1_T2_T3_mT4_P12ihipStream_tbEUlT_E1_NS1_11comp_targetILNS1_3genE8ELNS1_11target_archE1030ELNS1_3gpuE2ELNS1_3repE0EEENS1_30default_config_static_selectorELNS0_4arch9wavefront6targetE0EEEvSF_,"axG",@progbits,_ZN7rocprim17ROCPRIM_400000_NS6detail17trampoline_kernelINS0_14default_configENS1_22reduce_config_selectorI11minmax_pairIiEEEZNS1_11reduce_implILb1ES3_PS6_S9_S6_16minmax_binary_opIiEEE10hipError_tPvRmT1_T2_T3_mT4_P12ihipStream_tbEUlT_E1_NS1_11comp_targetILNS1_3genE8ELNS1_11target_archE1030ELNS1_3gpuE2ELNS1_3repE0EEENS1_30default_config_static_selectorELNS0_4arch9wavefront6targetE0EEEvSF_,comdat
	.protected	_ZN7rocprim17ROCPRIM_400000_NS6detail17trampoline_kernelINS0_14default_configENS1_22reduce_config_selectorI11minmax_pairIiEEEZNS1_11reduce_implILb1ES3_PS6_S9_S6_16minmax_binary_opIiEEE10hipError_tPvRmT1_T2_T3_mT4_P12ihipStream_tbEUlT_E1_NS1_11comp_targetILNS1_3genE8ELNS1_11target_archE1030ELNS1_3gpuE2ELNS1_3repE0EEENS1_30default_config_static_selectorELNS0_4arch9wavefront6targetE0EEEvSF_ ; -- Begin function _ZN7rocprim17ROCPRIM_400000_NS6detail17trampoline_kernelINS0_14default_configENS1_22reduce_config_selectorI11minmax_pairIiEEEZNS1_11reduce_implILb1ES3_PS6_S9_S6_16minmax_binary_opIiEEE10hipError_tPvRmT1_T2_T3_mT4_P12ihipStream_tbEUlT_E1_NS1_11comp_targetILNS1_3genE8ELNS1_11target_archE1030ELNS1_3gpuE2ELNS1_3repE0EEENS1_30default_config_static_selectorELNS0_4arch9wavefront6targetE0EEEvSF_
	.globl	_ZN7rocprim17ROCPRIM_400000_NS6detail17trampoline_kernelINS0_14default_configENS1_22reduce_config_selectorI11minmax_pairIiEEEZNS1_11reduce_implILb1ES3_PS6_S9_S6_16minmax_binary_opIiEEE10hipError_tPvRmT1_T2_T3_mT4_P12ihipStream_tbEUlT_E1_NS1_11comp_targetILNS1_3genE8ELNS1_11target_archE1030ELNS1_3gpuE2ELNS1_3repE0EEENS1_30default_config_static_selectorELNS0_4arch9wavefront6targetE0EEEvSF_
	.p2align	8
	.type	_ZN7rocprim17ROCPRIM_400000_NS6detail17trampoline_kernelINS0_14default_configENS1_22reduce_config_selectorI11minmax_pairIiEEEZNS1_11reduce_implILb1ES3_PS6_S9_S6_16minmax_binary_opIiEEE10hipError_tPvRmT1_T2_T3_mT4_P12ihipStream_tbEUlT_E1_NS1_11comp_targetILNS1_3genE8ELNS1_11target_archE1030ELNS1_3gpuE2ELNS1_3repE0EEENS1_30default_config_static_selectorELNS0_4arch9wavefront6targetE0EEEvSF_,@function
_ZN7rocprim17ROCPRIM_400000_NS6detail17trampoline_kernelINS0_14default_configENS1_22reduce_config_selectorI11minmax_pairIiEEEZNS1_11reduce_implILb1ES3_PS6_S9_S6_16minmax_binary_opIiEEE10hipError_tPvRmT1_T2_T3_mT4_P12ihipStream_tbEUlT_E1_NS1_11comp_targetILNS1_3genE8ELNS1_11target_archE1030ELNS1_3gpuE2ELNS1_3repE0EEENS1_30default_config_static_selectorELNS0_4arch9wavefront6targetE0EEEvSF_: ; @_ZN7rocprim17ROCPRIM_400000_NS6detail17trampoline_kernelINS0_14default_configENS1_22reduce_config_selectorI11minmax_pairIiEEEZNS1_11reduce_implILb1ES3_PS6_S9_S6_16minmax_binary_opIiEEE10hipError_tPvRmT1_T2_T3_mT4_P12ihipStream_tbEUlT_E1_NS1_11comp_targetILNS1_3genE8ELNS1_11target_archE1030ELNS1_3gpuE2ELNS1_3repE0EEENS1_30default_config_static_selectorELNS0_4arch9wavefront6targetE0EEEvSF_
; %bb.0:
	.section	.rodata,"a",@progbits
	.p2align	6, 0x0
	.amdhsa_kernel _ZN7rocprim17ROCPRIM_400000_NS6detail17trampoline_kernelINS0_14default_configENS1_22reduce_config_selectorI11minmax_pairIiEEEZNS1_11reduce_implILb1ES3_PS6_S9_S6_16minmax_binary_opIiEEE10hipError_tPvRmT1_T2_T3_mT4_P12ihipStream_tbEUlT_E1_NS1_11comp_targetILNS1_3genE8ELNS1_11target_archE1030ELNS1_3gpuE2ELNS1_3repE0EEENS1_30default_config_static_selectorELNS0_4arch9wavefront6targetE0EEEvSF_
		.amdhsa_group_segment_fixed_size 0
		.amdhsa_private_segment_fixed_size 0
		.amdhsa_kernarg_size 48
		.amdhsa_user_sgpr_count 2
		.amdhsa_user_sgpr_dispatch_ptr 0
		.amdhsa_user_sgpr_queue_ptr 0
		.amdhsa_user_sgpr_kernarg_segment_ptr 1
		.amdhsa_user_sgpr_dispatch_id 0
		.amdhsa_user_sgpr_kernarg_preload_length 0
		.amdhsa_user_sgpr_kernarg_preload_offset 0
		.amdhsa_user_sgpr_private_segment_size 0
		.amdhsa_wavefront_size32 1
		.amdhsa_uses_dynamic_stack 0
		.amdhsa_enable_private_segment 0
		.amdhsa_system_sgpr_workgroup_id_x 1
		.amdhsa_system_sgpr_workgroup_id_y 0
		.amdhsa_system_sgpr_workgroup_id_z 0
		.amdhsa_system_sgpr_workgroup_info 0
		.amdhsa_system_vgpr_workitem_id 0
		.amdhsa_next_free_vgpr 1
		.amdhsa_next_free_sgpr 1
		.amdhsa_named_barrier_count 0
		.amdhsa_reserve_vcc 0
		.amdhsa_float_round_mode_32 0
		.amdhsa_float_round_mode_16_64 0
		.amdhsa_float_denorm_mode_32 3
		.amdhsa_float_denorm_mode_16_64 3
		.amdhsa_fp16_overflow 0
		.amdhsa_memory_ordered 1
		.amdhsa_forward_progress 1
		.amdhsa_inst_pref_size 0
		.amdhsa_round_robin_scheduling 0
		.amdhsa_exception_fp_ieee_invalid_op 0
		.amdhsa_exception_fp_denorm_src 0
		.amdhsa_exception_fp_ieee_div_zero 0
		.amdhsa_exception_fp_ieee_overflow 0
		.amdhsa_exception_fp_ieee_underflow 0
		.amdhsa_exception_fp_ieee_inexact 0
		.amdhsa_exception_int_div_zero 0
	.end_amdhsa_kernel
	.section	.text._ZN7rocprim17ROCPRIM_400000_NS6detail17trampoline_kernelINS0_14default_configENS1_22reduce_config_selectorI11minmax_pairIiEEEZNS1_11reduce_implILb1ES3_PS6_S9_S6_16minmax_binary_opIiEEE10hipError_tPvRmT1_T2_T3_mT4_P12ihipStream_tbEUlT_E1_NS1_11comp_targetILNS1_3genE8ELNS1_11target_archE1030ELNS1_3gpuE2ELNS1_3repE0EEENS1_30default_config_static_selectorELNS0_4arch9wavefront6targetE0EEEvSF_,"axG",@progbits,_ZN7rocprim17ROCPRIM_400000_NS6detail17trampoline_kernelINS0_14default_configENS1_22reduce_config_selectorI11minmax_pairIiEEEZNS1_11reduce_implILb1ES3_PS6_S9_S6_16minmax_binary_opIiEEE10hipError_tPvRmT1_T2_T3_mT4_P12ihipStream_tbEUlT_E1_NS1_11comp_targetILNS1_3genE8ELNS1_11target_archE1030ELNS1_3gpuE2ELNS1_3repE0EEENS1_30default_config_static_selectorELNS0_4arch9wavefront6targetE0EEEvSF_,comdat
.Lfunc_end18:
	.size	_ZN7rocprim17ROCPRIM_400000_NS6detail17trampoline_kernelINS0_14default_configENS1_22reduce_config_selectorI11minmax_pairIiEEEZNS1_11reduce_implILb1ES3_PS6_S9_S6_16minmax_binary_opIiEEE10hipError_tPvRmT1_T2_T3_mT4_P12ihipStream_tbEUlT_E1_NS1_11comp_targetILNS1_3genE8ELNS1_11target_archE1030ELNS1_3gpuE2ELNS1_3repE0EEENS1_30default_config_static_selectorELNS0_4arch9wavefront6targetE0EEEvSF_, .Lfunc_end18-_ZN7rocprim17ROCPRIM_400000_NS6detail17trampoline_kernelINS0_14default_configENS1_22reduce_config_selectorI11minmax_pairIiEEEZNS1_11reduce_implILb1ES3_PS6_S9_S6_16minmax_binary_opIiEEE10hipError_tPvRmT1_T2_T3_mT4_P12ihipStream_tbEUlT_E1_NS1_11comp_targetILNS1_3genE8ELNS1_11target_archE1030ELNS1_3gpuE2ELNS1_3repE0EEENS1_30default_config_static_selectorELNS0_4arch9wavefront6targetE0EEEvSF_
                                        ; -- End function
	.set _ZN7rocprim17ROCPRIM_400000_NS6detail17trampoline_kernelINS0_14default_configENS1_22reduce_config_selectorI11minmax_pairIiEEEZNS1_11reduce_implILb1ES3_PS6_S9_S6_16minmax_binary_opIiEEE10hipError_tPvRmT1_T2_T3_mT4_P12ihipStream_tbEUlT_E1_NS1_11comp_targetILNS1_3genE8ELNS1_11target_archE1030ELNS1_3gpuE2ELNS1_3repE0EEENS1_30default_config_static_selectorELNS0_4arch9wavefront6targetE0EEEvSF_.num_vgpr, 0
	.set _ZN7rocprim17ROCPRIM_400000_NS6detail17trampoline_kernelINS0_14default_configENS1_22reduce_config_selectorI11minmax_pairIiEEEZNS1_11reduce_implILb1ES3_PS6_S9_S6_16minmax_binary_opIiEEE10hipError_tPvRmT1_T2_T3_mT4_P12ihipStream_tbEUlT_E1_NS1_11comp_targetILNS1_3genE8ELNS1_11target_archE1030ELNS1_3gpuE2ELNS1_3repE0EEENS1_30default_config_static_selectorELNS0_4arch9wavefront6targetE0EEEvSF_.num_agpr, 0
	.set _ZN7rocprim17ROCPRIM_400000_NS6detail17trampoline_kernelINS0_14default_configENS1_22reduce_config_selectorI11minmax_pairIiEEEZNS1_11reduce_implILb1ES3_PS6_S9_S6_16minmax_binary_opIiEEE10hipError_tPvRmT1_T2_T3_mT4_P12ihipStream_tbEUlT_E1_NS1_11comp_targetILNS1_3genE8ELNS1_11target_archE1030ELNS1_3gpuE2ELNS1_3repE0EEENS1_30default_config_static_selectorELNS0_4arch9wavefront6targetE0EEEvSF_.numbered_sgpr, 0
	.set _ZN7rocprim17ROCPRIM_400000_NS6detail17trampoline_kernelINS0_14default_configENS1_22reduce_config_selectorI11minmax_pairIiEEEZNS1_11reduce_implILb1ES3_PS6_S9_S6_16minmax_binary_opIiEEE10hipError_tPvRmT1_T2_T3_mT4_P12ihipStream_tbEUlT_E1_NS1_11comp_targetILNS1_3genE8ELNS1_11target_archE1030ELNS1_3gpuE2ELNS1_3repE0EEENS1_30default_config_static_selectorELNS0_4arch9wavefront6targetE0EEEvSF_.num_named_barrier, 0
	.set _ZN7rocprim17ROCPRIM_400000_NS6detail17trampoline_kernelINS0_14default_configENS1_22reduce_config_selectorI11minmax_pairIiEEEZNS1_11reduce_implILb1ES3_PS6_S9_S6_16minmax_binary_opIiEEE10hipError_tPvRmT1_T2_T3_mT4_P12ihipStream_tbEUlT_E1_NS1_11comp_targetILNS1_3genE8ELNS1_11target_archE1030ELNS1_3gpuE2ELNS1_3repE0EEENS1_30default_config_static_selectorELNS0_4arch9wavefront6targetE0EEEvSF_.private_seg_size, 0
	.set _ZN7rocprim17ROCPRIM_400000_NS6detail17trampoline_kernelINS0_14default_configENS1_22reduce_config_selectorI11minmax_pairIiEEEZNS1_11reduce_implILb1ES3_PS6_S9_S6_16minmax_binary_opIiEEE10hipError_tPvRmT1_T2_T3_mT4_P12ihipStream_tbEUlT_E1_NS1_11comp_targetILNS1_3genE8ELNS1_11target_archE1030ELNS1_3gpuE2ELNS1_3repE0EEENS1_30default_config_static_selectorELNS0_4arch9wavefront6targetE0EEEvSF_.uses_vcc, 0
	.set _ZN7rocprim17ROCPRIM_400000_NS6detail17trampoline_kernelINS0_14default_configENS1_22reduce_config_selectorI11minmax_pairIiEEEZNS1_11reduce_implILb1ES3_PS6_S9_S6_16minmax_binary_opIiEEE10hipError_tPvRmT1_T2_T3_mT4_P12ihipStream_tbEUlT_E1_NS1_11comp_targetILNS1_3genE8ELNS1_11target_archE1030ELNS1_3gpuE2ELNS1_3repE0EEENS1_30default_config_static_selectorELNS0_4arch9wavefront6targetE0EEEvSF_.uses_flat_scratch, 0
	.set _ZN7rocprim17ROCPRIM_400000_NS6detail17trampoline_kernelINS0_14default_configENS1_22reduce_config_selectorI11minmax_pairIiEEEZNS1_11reduce_implILb1ES3_PS6_S9_S6_16minmax_binary_opIiEEE10hipError_tPvRmT1_T2_T3_mT4_P12ihipStream_tbEUlT_E1_NS1_11comp_targetILNS1_3genE8ELNS1_11target_archE1030ELNS1_3gpuE2ELNS1_3repE0EEENS1_30default_config_static_selectorELNS0_4arch9wavefront6targetE0EEEvSF_.has_dyn_sized_stack, 0
	.set _ZN7rocprim17ROCPRIM_400000_NS6detail17trampoline_kernelINS0_14default_configENS1_22reduce_config_selectorI11minmax_pairIiEEEZNS1_11reduce_implILb1ES3_PS6_S9_S6_16minmax_binary_opIiEEE10hipError_tPvRmT1_T2_T3_mT4_P12ihipStream_tbEUlT_E1_NS1_11comp_targetILNS1_3genE8ELNS1_11target_archE1030ELNS1_3gpuE2ELNS1_3repE0EEENS1_30default_config_static_selectorELNS0_4arch9wavefront6targetE0EEEvSF_.has_recursion, 0
	.set _ZN7rocprim17ROCPRIM_400000_NS6detail17trampoline_kernelINS0_14default_configENS1_22reduce_config_selectorI11minmax_pairIiEEEZNS1_11reduce_implILb1ES3_PS6_S9_S6_16minmax_binary_opIiEEE10hipError_tPvRmT1_T2_T3_mT4_P12ihipStream_tbEUlT_E1_NS1_11comp_targetILNS1_3genE8ELNS1_11target_archE1030ELNS1_3gpuE2ELNS1_3repE0EEENS1_30default_config_static_selectorELNS0_4arch9wavefront6targetE0EEEvSF_.has_indirect_call, 0
	.section	.AMDGPU.csdata,"",@progbits
; Kernel info:
; codeLenInByte = 0
; TotalNumSgprs: 0
; NumVgprs: 0
; ScratchSize: 0
; MemoryBound: 0
; FloatMode: 240
; IeeeMode: 1
; LDSByteSize: 0 bytes/workgroup (compile time only)
; SGPRBlocks: 0
; VGPRBlocks: 0
; NumSGPRsForWavesPerEU: 1
; NumVGPRsForWavesPerEU: 1
; NamedBarCnt: 0
; Occupancy: 16
; WaveLimiterHint : 0
; COMPUTE_PGM_RSRC2:SCRATCH_EN: 0
; COMPUTE_PGM_RSRC2:USER_SGPR: 2
; COMPUTE_PGM_RSRC2:TRAP_HANDLER: 0
; COMPUTE_PGM_RSRC2:TGID_X_EN: 1
; COMPUTE_PGM_RSRC2:TGID_Y_EN: 0
; COMPUTE_PGM_RSRC2:TGID_Z_EN: 0
; COMPUTE_PGM_RSRC2:TIDIG_COMP_CNT: 0
	.section	.text._ZN7rocprim17ROCPRIM_400000_NS6detail17trampoline_kernelINS0_14default_configENS1_22reduce_config_selectorI11minmax_pairIiEEEZNS1_11reduce_implILb1ES3_N6thrust23THRUST_200600_302600_NS11hip_rocprim26transform_input_iterator_tIS6_NSA_6detail15normal_iteratorINSA_10device_ptrIiEEEE15minmax_unary_opIiEEEPS6_S6_16minmax_binary_opIiEEE10hipError_tPvRmT1_T2_T3_mT4_P12ihipStream_tbEUlT_E0_NS1_11comp_targetILNS1_3genE0ELNS1_11target_archE4294967295ELNS1_3gpuE0ELNS1_3repE0EEENS1_30default_config_static_selectorELNS0_4arch9wavefront6targetE0EEEvSR_,"axG",@progbits,_ZN7rocprim17ROCPRIM_400000_NS6detail17trampoline_kernelINS0_14default_configENS1_22reduce_config_selectorI11minmax_pairIiEEEZNS1_11reduce_implILb1ES3_N6thrust23THRUST_200600_302600_NS11hip_rocprim26transform_input_iterator_tIS6_NSA_6detail15normal_iteratorINSA_10device_ptrIiEEEE15minmax_unary_opIiEEEPS6_S6_16minmax_binary_opIiEEE10hipError_tPvRmT1_T2_T3_mT4_P12ihipStream_tbEUlT_E0_NS1_11comp_targetILNS1_3genE0ELNS1_11target_archE4294967295ELNS1_3gpuE0ELNS1_3repE0EEENS1_30default_config_static_selectorELNS0_4arch9wavefront6targetE0EEEvSR_,comdat
	.protected	_ZN7rocprim17ROCPRIM_400000_NS6detail17trampoline_kernelINS0_14default_configENS1_22reduce_config_selectorI11minmax_pairIiEEEZNS1_11reduce_implILb1ES3_N6thrust23THRUST_200600_302600_NS11hip_rocprim26transform_input_iterator_tIS6_NSA_6detail15normal_iteratorINSA_10device_ptrIiEEEE15minmax_unary_opIiEEEPS6_S6_16minmax_binary_opIiEEE10hipError_tPvRmT1_T2_T3_mT4_P12ihipStream_tbEUlT_E0_NS1_11comp_targetILNS1_3genE0ELNS1_11target_archE4294967295ELNS1_3gpuE0ELNS1_3repE0EEENS1_30default_config_static_selectorELNS0_4arch9wavefront6targetE0EEEvSR_ ; -- Begin function _ZN7rocprim17ROCPRIM_400000_NS6detail17trampoline_kernelINS0_14default_configENS1_22reduce_config_selectorI11minmax_pairIiEEEZNS1_11reduce_implILb1ES3_N6thrust23THRUST_200600_302600_NS11hip_rocprim26transform_input_iterator_tIS6_NSA_6detail15normal_iteratorINSA_10device_ptrIiEEEE15minmax_unary_opIiEEEPS6_S6_16minmax_binary_opIiEEE10hipError_tPvRmT1_T2_T3_mT4_P12ihipStream_tbEUlT_E0_NS1_11comp_targetILNS1_3genE0ELNS1_11target_archE4294967295ELNS1_3gpuE0ELNS1_3repE0EEENS1_30default_config_static_selectorELNS0_4arch9wavefront6targetE0EEEvSR_
	.globl	_ZN7rocprim17ROCPRIM_400000_NS6detail17trampoline_kernelINS0_14default_configENS1_22reduce_config_selectorI11minmax_pairIiEEEZNS1_11reduce_implILb1ES3_N6thrust23THRUST_200600_302600_NS11hip_rocprim26transform_input_iterator_tIS6_NSA_6detail15normal_iteratorINSA_10device_ptrIiEEEE15minmax_unary_opIiEEEPS6_S6_16minmax_binary_opIiEEE10hipError_tPvRmT1_T2_T3_mT4_P12ihipStream_tbEUlT_E0_NS1_11comp_targetILNS1_3genE0ELNS1_11target_archE4294967295ELNS1_3gpuE0ELNS1_3repE0EEENS1_30default_config_static_selectorELNS0_4arch9wavefront6targetE0EEEvSR_
	.p2align	8
	.type	_ZN7rocprim17ROCPRIM_400000_NS6detail17trampoline_kernelINS0_14default_configENS1_22reduce_config_selectorI11minmax_pairIiEEEZNS1_11reduce_implILb1ES3_N6thrust23THRUST_200600_302600_NS11hip_rocprim26transform_input_iterator_tIS6_NSA_6detail15normal_iteratorINSA_10device_ptrIiEEEE15minmax_unary_opIiEEEPS6_S6_16minmax_binary_opIiEEE10hipError_tPvRmT1_T2_T3_mT4_P12ihipStream_tbEUlT_E0_NS1_11comp_targetILNS1_3genE0ELNS1_11target_archE4294967295ELNS1_3gpuE0ELNS1_3repE0EEENS1_30default_config_static_selectorELNS0_4arch9wavefront6targetE0EEEvSR_,@function
_ZN7rocprim17ROCPRIM_400000_NS6detail17trampoline_kernelINS0_14default_configENS1_22reduce_config_selectorI11minmax_pairIiEEEZNS1_11reduce_implILb1ES3_N6thrust23THRUST_200600_302600_NS11hip_rocprim26transform_input_iterator_tIS6_NSA_6detail15normal_iteratorINSA_10device_ptrIiEEEE15minmax_unary_opIiEEEPS6_S6_16minmax_binary_opIiEEE10hipError_tPvRmT1_T2_T3_mT4_P12ihipStream_tbEUlT_E0_NS1_11comp_targetILNS1_3genE0ELNS1_11target_archE4294967295ELNS1_3gpuE0ELNS1_3repE0EEENS1_30default_config_static_selectorELNS0_4arch9wavefront6targetE0EEEvSR_: ; @_ZN7rocprim17ROCPRIM_400000_NS6detail17trampoline_kernelINS0_14default_configENS1_22reduce_config_selectorI11minmax_pairIiEEEZNS1_11reduce_implILb1ES3_N6thrust23THRUST_200600_302600_NS11hip_rocprim26transform_input_iterator_tIS6_NSA_6detail15normal_iteratorINSA_10device_ptrIiEEEE15minmax_unary_opIiEEEPS6_S6_16minmax_binary_opIiEEE10hipError_tPvRmT1_T2_T3_mT4_P12ihipStream_tbEUlT_E0_NS1_11comp_targetILNS1_3genE0ELNS1_11target_archE4294967295ELNS1_3gpuE0ELNS1_3repE0EEENS1_30default_config_static_selectorELNS0_4arch9wavefront6targetE0EEEvSR_
; %bb.0:
	s_clause 0x2
	s_load_b256 s[12:19], s[0:1], 0x10
	s_load_b64 s[4:5], s[0:1], 0x0
	s_load_b64 s[20:21], s[0:1], 0x30
	s_bfe_u32 s2, ttmp6, 0x4000c
	s_and_b32 s6, ttmp6, 15
	s_add_co_i32 s2, s2, 1
	s_getreg_b32 s8, hwreg(HW_REG_IB_STS2, 6, 4)
	s_mul_i32 s2, ttmp9, s2
	s_mov_b32 s3, 0
	s_add_co_i32 s2, s6, s2
	v_mbcnt_lo_u32_b32 v1, -1, 0
	s_mov_b32 s23, s3
	s_wait_kmcnt 0x0
	s_lshl_b64 s[6:7], s[12:13], 2
	s_cmp_eq_u32 s8, 0
	s_add_nc_u64 s[4:5], s[4:5], s[6:7]
	s_cselect_b32 s22, ttmp9, s2
	s_lshr_b64 s[6:7], s[14:15], 12
	s_lshl_b32 s2, s22, 12
	s_delay_alu instid0(SALU_CYCLE_1)
	s_lshl_b64 s[8:9], s[2:3], 2
	s_cmp_lg_u64 s[6:7], s[22:23]
	s_add_nc_u64 s[26:27], s[4:5], s[8:9]
	s_cbranch_scc0 .LBB19_6
; %bb.1:
	s_clause 0xf
	flat_load_b32 v2, v0, s[26:27] scale_offset
	flat_load_b32 v3, v0, s[26:27] offset:1024 scale_offset
	flat_load_b32 v4, v0, s[26:27] offset:2048 scale_offset
	;; [unrolled: 1-line block ×15, first 2 shown]
	s_mov_b32 s3, exec_lo
	s_wait_loadcnt_dscnt 0xe0e
	v_min_i32_e32 v18, v3, v2
	v_max_i32_e32 v2, v2, v3
	s_wait_loadcnt_dscnt 0xc0c
	s_delay_alu instid0(VALU_DEP_2) | instskip(NEXT) | instid1(VALU_DEP_2)
	v_min3_i32 v3, v5, v4, v18
	v_max3_i32 v2, v2, v4, v5
	s_wait_loadcnt_dscnt 0xa0a
	s_delay_alu instid0(VALU_DEP_2) | instskip(NEXT) | instid1(VALU_DEP_2)
	v_min3_i32 v3, v7, v6, v3
	v_max3_i32 v2, v2, v6, v7
	v_mov_b32_e32 v6, 0
	s_wait_loadcnt_dscnt 0x808
	s_delay_alu instid0(VALU_DEP_3) | instskip(NEXT) | instid1(VALU_DEP_3)
	v_min3_i32 v3, v9, v8, v3
	v_max3_i32 v2, v2, v8, v9
	s_wait_loadcnt_dscnt 0x606
	s_delay_alu instid0(VALU_DEP_2) | instskip(NEXT) | instid1(VALU_DEP_2)
	v_min3_i32 v3, v11, v10, v3
	v_max3_i32 v2, v2, v10, v11
	s_wait_loadcnt_dscnt 0x404
	s_delay_alu instid0(VALU_DEP_2) | instskip(NEXT) | instid1(VALU_DEP_2)
	v_min3_i32 v3, v13, v12, v3
	v_max3_i32 v2, v2, v12, v13
	s_wait_loadcnt_dscnt 0x202
	s_delay_alu instid0(VALU_DEP_2) | instskip(NEXT) | instid1(VALU_DEP_2)
	v_min3_i32 v3, v15, v14, v3
	v_max3_i32 v2, v2, v14, v15
	s_wait_loadcnt_dscnt 0x0
	s_delay_alu instid0(VALU_DEP_2) | instskip(NEXT) | instid1(VALU_DEP_2)
	v_min3_i32 v3, v17, v16, v3
	v_max3_i32 v2, v2, v16, v17
	s_delay_alu instid0(VALU_DEP_2) | instskip(NEXT) | instid1(VALU_DEP_2)
	v_mov_b32_dpp v4, v3 quad_perm:[1,0,3,2] row_mask:0xf bank_mask:0xf
	v_mov_b32_dpp v5, v2 quad_perm:[1,0,3,2] row_mask:0xf bank_mask:0xf
	s_delay_alu instid0(VALU_DEP_2) | instskip(NEXT) | instid1(VALU_DEP_2)
	v_min_i32_e32 v3, v3, v4
	v_max_i32_e32 v2, v5, v2
	s_delay_alu instid0(VALU_DEP_2) | instskip(NEXT) | instid1(VALU_DEP_2)
	v_mov_b32_dpp v4, v3 quad_perm:[2,3,0,1] row_mask:0xf bank_mask:0xf
	v_mov_b32_dpp v5, v2 quad_perm:[2,3,0,1] row_mask:0xf bank_mask:0xf
	s_delay_alu instid0(VALU_DEP_2) | instskip(NEXT) | instid1(VALU_DEP_2)
	v_min_i32_e32 v3, v3, v4
	v_max_i32_e32 v2, v5, v2
	s_delay_alu instid0(VALU_DEP_2) | instskip(NEXT) | instid1(VALU_DEP_2)
	v_mov_b32_dpp v4, v3 row_ror:4 row_mask:0xf bank_mask:0xf
	v_mov_b32_dpp v5, v2 row_ror:4 row_mask:0xf bank_mask:0xf
	s_delay_alu instid0(VALU_DEP_2) | instskip(NEXT) | instid1(VALU_DEP_2)
	v_min_i32_e32 v3, v3, v4
	v_max_i32_e32 v2, v5, v2
	s_delay_alu instid0(VALU_DEP_2) | instskip(NEXT) | instid1(VALU_DEP_2)
	v_mov_b32_dpp v4, v3 row_ror:8 row_mask:0xf bank_mask:0xf
	v_mov_b32_dpp v5, v2 row_ror:8 row_mask:0xf bank_mask:0xf
	s_delay_alu instid0(VALU_DEP_2) | instskip(NEXT) | instid1(VALU_DEP_2)
	v_min_i32_e32 v3, v3, v4
	v_max_i32_e32 v2, v5, v2
	ds_swizzle_b32 v4, v3 offset:swizzle(BROADCAST,32,15)
	ds_swizzle_b32 v5, v2 offset:swizzle(BROADCAST,32,15)
	s_wait_dscnt 0x1
	v_min_i32_e32 v3, v3, v4
	s_wait_dscnt 0x0
	v_max_i32_e32 v4, v5, v2
	ds_bpermute_b32 v2, v6, v3 offset:124
	ds_bpermute_b32 v3, v6, v4 offset:124
	v_cmpx_eq_u32_e32 0, v1
	s_cbranch_execz .LBB19_3
; %bb.2:
	v_lshrrev_b32_e32 v4, 2, v0
	s_delay_alu instid0(VALU_DEP_1)
	v_and_b32_e32 v4, 56, v4
	s_wait_dscnt 0x0
	ds_store_b64 v4, v[2:3] offset:64
.LBB19_3:
	s_or_b32 exec_lo, exec_lo, s3
	s_delay_alu instid0(SALU_CYCLE_1)
	s_mov_b32 s3, exec_lo
	s_wait_dscnt 0x0
	s_barrier_signal -1
	s_barrier_wait -1
	v_cmpx_gt_u32_e32 32, v0
	s_cbranch_execz .LBB19_5
; %bb.4:
	v_and_b32_e32 v4, 7, v1
	s_delay_alu instid0(VALU_DEP_1) | instskip(SKIP_1) | instid1(VALU_DEP_1)
	v_cmp_ne_u32_e32 vcc_lo, 7, v4
	v_add_co_ci_u32_e64 v5, null, 0, v1, vcc_lo
	v_dual_lshlrev_b32 v2, 3, v4 :: v_dual_lshlrev_b32 v5, 2, v5
	ds_load_b64 v[2:3], v2 offset:64
	s_wait_dscnt 0x0
	ds_bpermute_b32 v6, v5, v2
	ds_bpermute_b32 v5, v5, v3
	s_wait_dscnt 0x1
	v_dual_lshlrev_b32 v6, 2, v1 :: v_dual_min_i32 v2, v6, v2
	v_cmp_gt_u32_e32 vcc_lo, 6, v4
	s_wait_dscnt 0x0
	v_max_i32_e32 v3, v3, v5
	s_delay_alu instid0(VALU_DEP_3) | instskip(SKIP_1) | instid1(VALU_DEP_1)
	v_or_b32_e32 v6, 16, v6
	v_cndmask_b32_e64 v4, 0, 2, vcc_lo
	v_add_lshl_u32 v4, v4, v1, 2
	ds_bpermute_b32 v5, v4, v2
	ds_bpermute_b32 v4, v4, v3
	s_wait_dscnt 0x1
	v_min_i32_e32 v2, v5, v2
	s_wait_dscnt 0x0
	v_max_i32_e32 v3, v3, v4
	ds_bpermute_b32 v4, v6, v2
	ds_bpermute_b32 v5, v6, v3
	s_wait_dscnt 0x1
	v_min_i32_e32 v2, v4, v2
	s_wait_dscnt 0x0
	v_max_i32_e32 v3, v3, v5
.LBB19_5:
	s_or_b32 exec_lo, exec_lo, s3
	s_load_b64 s[24:25], s[0:1], 0x38
	s_branch .LBB19_44
.LBB19_6:
                                        ; implicit-def: $vgpr3
	s_load_b64 s[24:25], s[0:1], 0x38
	s_cbranch_execz .LBB19_44
; %bb.7:
	s_sub_co_i32 s28, s14, s2
	s_wait_xcnt 0x0
	s_mov_b32 s0, exec_lo
                                        ; implicit-def: $vgpr2_vgpr3
	v_cmpx_gt_u32_e64 s28, v0
	s_cbranch_execz .LBB19_9
; %bb.8:
	flat_load_b32 v2, v0, s[26:27] scale_offset
	s_wait_loadcnt_dscnt 0x0
	v_mov_b32_e32 v3, v2
.LBB19_9:
	s_or_b32 exec_lo, exec_lo, s0
	v_or_b32_e32 v4, 0x100, v0
	s_delay_alu instid0(VALU_DEP_1)
	v_cmp_gt_u32_e32 vcc_lo, s28, v4
                                        ; implicit-def: $vgpr4
	s_and_saveexec_b32 s0, vcc_lo
	s_cbranch_execz .LBB19_11
; %bb.10:
	flat_load_b32 v4, v0, s[26:27] offset:1024 scale_offset
.LBB19_11:
	s_wait_xcnt 0x0
	s_or_b32 exec_lo, exec_lo, s0
	v_or_b32_e32 v5, 0x200, v0
	s_delay_alu instid0(VALU_DEP_1)
	v_cmp_gt_u32_e64 s0, s28, v5
                                        ; implicit-def: $vgpr5
	s_and_saveexec_b32 s1, s0
	s_cbranch_execz .LBB19_13
; %bb.12:
	flat_load_b32 v5, v0, s[26:27] offset:2048 scale_offset
.LBB19_13:
	s_wait_xcnt 0x0
	s_or_b32 exec_lo, exec_lo, s1
	v_or_b32_e32 v6, 0x300, v0
	s_delay_alu instid0(VALU_DEP_1)
	v_cmp_gt_u32_e64 s1, s28, v6
                                        ; implicit-def: $vgpr6
	s_and_saveexec_b32 s2, s1
	s_cbranch_execz .LBB19_15
; %bb.14:
	flat_load_b32 v6, v0, s[26:27] offset:3072 scale_offset
.LBB19_15:
	s_wait_xcnt 0x0
	s_or_b32 exec_lo, exec_lo, s2
	v_or_b32_e32 v7, 0x400, v0
	s_delay_alu instid0(VALU_DEP_1)
	v_cmp_gt_u32_e64 s2, s28, v7
                                        ; implicit-def: $vgpr7
	s_and_saveexec_b32 s3, s2
	s_cbranch_execz .LBB19_17
; %bb.16:
	flat_load_b32 v7, v0, s[26:27] offset:4096 scale_offset
.LBB19_17:
	s_wait_xcnt 0x0
	s_or_b32 exec_lo, exec_lo, s3
	v_or_b32_e32 v8, 0x500, v0
	s_delay_alu instid0(VALU_DEP_1)
	v_cmp_gt_u32_e64 s3, s28, v8
                                        ; implicit-def: $vgpr8
	s_and_saveexec_b32 s4, s3
	s_cbranch_execz .LBB19_19
; %bb.18:
	flat_load_b32 v8, v0, s[26:27] offset:5120 scale_offset
.LBB19_19:
	s_wait_xcnt 0x0
	s_or_b32 exec_lo, exec_lo, s4
	v_or_b32_e32 v9, 0x600, v0
	s_delay_alu instid0(VALU_DEP_1)
	v_cmp_gt_u32_e64 s4, s28, v9
                                        ; implicit-def: $vgpr9
	s_and_saveexec_b32 s5, s4
	s_cbranch_execz .LBB19_21
; %bb.20:
	flat_load_b32 v9, v0, s[26:27] offset:6144 scale_offset
.LBB19_21:
	s_wait_xcnt 0x0
	s_or_b32 exec_lo, exec_lo, s5
	v_or_b32_e32 v10, 0x700, v0
	s_delay_alu instid0(VALU_DEP_1)
	v_cmp_gt_u32_e64 s5, s28, v10
                                        ; implicit-def: $vgpr10
	s_and_saveexec_b32 s6, s5
	s_cbranch_execz .LBB19_23
; %bb.22:
	flat_load_b32 v10, v0, s[26:27] offset:7168 scale_offset
.LBB19_23:
	s_wait_xcnt 0x0
	s_or_b32 exec_lo, exec_lo, s6
	v_or_b32_e32 v11, 0x800, v0
	s_delay_alu instid0(VALU_DEP_1)
	v_cmp_gt_u32_e64 s6, s28, v11
                                        ; implicit-def: $vgpr11
	s_and_saveexec_b32 s7, s6
	s_cbranch_execz .LBB19_25
; %bb.24:
	flat_load_b32 v11, v0, s[26:27] offset:8192 scale_offset
.LBB19_25:
	s_wait_xcnt 0x0
	s_or_b32 exec_lo, exec_lo, s7
	v_or_b32_e32 v12, 0x900, v0
	s_delay_alu instid0(VALU_DEP_1)
	v_cmp_gt_u32_e64 s7, s28, v12
                                        ; implicit-def: $vgpr12
	s_and_saveexec_b32 s8, s7
	s_cbranch_execz .LBB19_27
; %bb.26:
	flat_load_b32 v12, v0, s[26:27] offset:9216 scale_offset
.LBB19_27:
	s_wait_xcnt 0x0
	s_or_b32 exec_lo, exec_lo, s8
	v_or_b32_e32 v13, 0xa00, v0
	s_delay_alu instid0(VALU_DEP_1)
	v_cmp_gt_u32_e64 s8, s28, v13
                                        ; implicit-def: $vgpr13
	s_and_saveexec_b32 s9, s8
	s_cbranch_execz .LBB19_29
; %bb.28:
	flat_load_b32 v13, v0, s[26:27] offset:10240 scale_offset
.LBB19_29:
	s_wait_xcnt 0x0
	s_or_b32 exec_lo, exec_lo, s9
	v_or_b32_e32 v14, 0xb00, v0
	s_delay_alu instid0(VALU_DEP_1)
	v_cmp_gt_u32_e64 s9, s28, v14
                                        ; implicit-def: $vgpr14
	s_and_saveexec_b32 s10, s9
	s_cbranch_execz .LBB19_31
; %bb.30:
	flat_load_b32 v14, v0, s[26:27] offset:11264 scale_offset
.LBB19_31:
	s_wait_xcnt 0x0
	s_or_b32 exec_lo, exec_lo, s10
	v_or_b32_e32 v15, 0xc00, v0
	s_delay_alu instid0(VALU_DEP_1)
	v_cmp_gt_u32_e64 s10, s28, v15
                                        ; implicit-def: $vgpr15
	s_and_saveexec_b32 s11, s10
	s_cbranch_execz .LBB19_33
; %bb.32:
	flat_load_b32 v15, v0, s[26:27] offset:12288 scale_offset
.LBB19_33:
	s_wait_xcnt 0x0
	s_or_b32 exec_lo, exec_lo, s11
	v_or_b32_e32 v16, 0xd00, v0
	s_delay_alu instid0(VALU_DEP_1)
	v_cmp_gt_u32_e64 s11, s28, v16
                                        ; implicit-def: $vgpr16
	s_and_saveexec_b32 s12, s11
	s_cbranch_execz .LBB19_35
; %bb.34:
	flat_load_b32 v16, v0, s[26:27] offset:13312 scale_offset
.LBB19_35:
	s_wait_xcnt 0x0
	s_or_b32 exec_lo, exec_lo, s12
	v_or_b32_e32 v17, 0xe00, v0
	s_delay_alu instid0(VALU_DEP_1)
	v_cmp_gt_u32_e64 s13, s28, v17
                                        ; implicit-def: $vgpr17
	s_and_saveexec_b32 s12, s13
	s_cbranch_execz .LBB19_37
; %bb.36:
	flat_load_b32 v17, v0, s[26:27] offset:14336 scale_offset
.LBB19_37:
	s_wait_xcnt 0x0
	s_or_b32 exec_lo, exec_lo, s12
	v_or_b32_e32 v18, 0xf00, v0
	s_delay_alu instid0(VALU_DEP_1)
	v_cmp_gt_u32_e64 s12, s28, v18
                                        ; implicit-def: $vgpr18
	s_and_saveexec_b32 s29, s12
	s_cbranch_execz .LBB19_39
; %bb.38:
	flat_load_b32 v18, v0, s[26:27] offset:15360 scale_offset
.LBB19_39:
	s_wait_xcnt 0x0
	s_or_b32 exec_lo, exec_lo, s29
	s_wait_loadcnt_dscnt 0x0
	v_min_i32_e32 v19, v4, v2
	v_max_i32_e32 v4, v3, v4
	s_delay_alu instid0(VALU_DEP_1) | instskip(SKIP_1) | instid1(VALU_DEP_2)
	v_dual_cndmask_b32 v3, v3, v4 :: v_dual_cndmask_b32 v2, v2, v19
	v_cmp_ne_u32_e32 vcc_lo, 31, v1
	v_min_i32_e32 v4, v5, v2
	s_delay_alu instid0(VALU_DEP_3) | instskip(NEXT) | instid1(VALU_DEP_1)
	v_max_i32_e32 v5, v3, v5
	v_dual_cndmask_b32 v3, v3, v5, s0 :: v_dual_cndmask_b32 v2, v2, v4, s0
	s_min_u32 s0, s28, 0x100
	s_delay_alu instid0(VALU_DEP_1) | instskip(NEXT) | instid1(VALU_DEP_1)
	v_max_i32_e32 v5, v3, v6
	v_dual_cndmask_b32 v3, v3, v5, s1 :: v_dual_min_i32 v4, v6, v2
	s_delay_alu instid0(VALU_DEP_1) | instskip(SKIP_1) | instid1(VALU_DEP_1)
	v_cndmask_b32_e64 v2, v2, v4, s1
	s_mov_b32 s1, exec_lo
	v_min_i32_e32 v4, v7, v2
	s_delay_alu instid0(VALU_DEP_3) | instskip(NEXT) | instid1(VALU_DEP_1)
	v_dual_add_nc_u32 v7, 1, v1 :: v_dual_max_i32 v5, v3, v7
	v_dual_cndmask_b32 v2, v2, v4, s2 :: v_dual_cndmask_b32 v3, v3, v5, s2
	s_delay_alu instid0(VALU_DEP_1) | instskip(NEXT) | instid1(VALU_DEP_2)
	v_min_i32_e32 v4, v8, v2
	v_max_i32_e32 v5, v3, v8
	s_delay_alu instid0(VALU_DEP_1) | instskip(NEXT) | instid1(VALU_DEP_1)
	v_dual_cndmask_b32 v2, v2, v4, s3 :: v_dual_cndmask_b32 v3, v3, v5, s3
	v_max_i32_e32 v5, v3, v9
	s_delay_alu instid0(VALU_DEP_1) | instskip(NEXT) | instid1(VALU_DEP_1)
	v_dual_cndmask_b32 v3, v3, v5, s4 :: v_dual_min_i32 v4, v9, v2
	v_dual_cndmask_b32 v2, v2, v4, s4 :: v_dual_max_i32 v5, v3, v10
	s_delay_alu instid0(VALU_DEP_1) | instskip(NEXT) | instid1(VALU_DEP_1)
	v_dual_cndmask_b32 v3, v3, v5, s5 :: v_dual_min_i32 v4, v10, v2
	v_cndmask_b32_e64 v2, v2, v4, s5
	s_delay_alu instid0(VALU_DEP_1) | instskip(NEXT) | instid1(VALU_DEP_1)
	v_min_i32_e32 v4, v11, v2
	v_dual_cndmask_b32 v2, v2, v4, s6 :: v_dual_max_i32 v5, v3, v11
	s_delay_alu instid0(VALU_DEP_1) | instskip(NEXT) | instid1(VALU_DEP_1)
	v_dual_cndmask_b32 v3, v3, v5, s6 :: v_dual_min_i32 v4, v12, v2
	v_max_i32_e32 v5, v3, v12
	s_delay_alu instid0(VALU_DEP_1) | instskip(NEXT) | instid1(VALU_DEP_1)
	v_dual_cndmask_b32 v2, v2, v4, s7 :: v_dual_cndmask_b32 v3, v3, v5, s7
	v_max_i32_e32 v5, v3, v13
	s_delay_alu instid0(VALU_DEP_1) | instskip(NEXT) | instid1(VALU_DEP_1)
	v_dual_cndmask_b32 v3, v3, v5, s8 :: v_dual_min_i32 v4, v13, v2
	v_dual_cndmask_b32 v2, v2, v4, s8 :: v_dual_max_i32 v5, v3, v14
	s_delay_alu instid0(VALU_DEP_1) | instskip(NEXT) | instid1(VALU_DEP_1)
	v_dual_cndmask_b32 v3, v3, v5, s9 :: v_dual_min_i32 v4, v14, v2
	v_cndmask_b32_e64 v2, v2, v4, s9
	s_delay_alu instid0(VALU_DEP_1) | instskip(NEXT) | instid1(VALU_DEP_1)
	v_min_i32_e32 v4, v15, v2
	v_dual_cndmask_b32 v2, v2, v4, s10 :: v_dual_max_i32 v5, v3, v15
	s_delay_alu instid0(VALU_DEP_1) | instskip(NEXT) | instid1(VALU_DEP_1)
	v_dual_cndmask_b32 v3, v3, v5, s10 :: v_dual_min_i32 v4, v16, v2
	v_max_i32_e32 v5, v3, v16
	s_delay_alu instid0(VALU_DEP_1) | instskip(NEXT) | instid1(VALU_DEP_1)
	v_dual_cndmask_b32 v2, v2, v4, s11 :: v_dual_cndmask_b32 v3, v3, v5, s11
	v_max_i32_e32 v5, v3, v17
	s_delay_alu instid0(VALU_DEP_1) | instskip(NEXT) | instid1(VALU_DEP_1)
	v_dual_cndmask_b32 v3, v3, v5, s13 :: v_dual_min_i32 v4, v17, v2
	v_cndmask_b32_e64 v2, v2, v4, s13
	v_add_co_ci_u32_e64 v4, null, 0, v1, vcc_lo
	v_cmp_gt_u32_e32 vcc_lo, 30, v1
	s_delay_alu instid0(VALU_DEP_4) | instskip(NEXT) | instid1(VALU_DEP_3)
	v_max_i32_e32 v6, v3, v18
	v_dual_lshlrev_b32 v4, 2, v4 :: v_dual_min_i32 v5, v18, v2
	v_cndmask_b32_e64 v8, 0, 2, vcc_lo
	s_delay_alu instid0(VALU_DEP_2) | instskip(SKIP_4) | instid1(VALU_DEP_1)
	v_dual_cndmask_b32 v3, v3, v6, s12 :: v_dual_cndmask_b32 v2, v2, v5, s12
	v_and_b32_e32 v6, 0xe0, v0
	ds_bpermute_b32 v5, v4, v2
	ds_bpermute_b32 v4, v4, v3
	v_sub_nc_u32_e64 v6, s0, v6 clamp
	v_cmp_lt_u32_e32 vcc_lo, v7, v6
	v_add_lshl_u32 v7, v8, v1, 2
	s_wait_dscnt 0x1
	v_min_i32_e32 v5, v5, v2
	s_wait_dscnt 0x0
	s_delay_alu instid0(VALU_DEP_1) | instskip(NEXT) | instid1(VALU_DEP_1)
	v_dual_cndmask_b32 v2, v2, v5, vcc_lo :: v_dual_max_i32 v4, v3, v4
	v_cndmask_b32_e32 v3, v3, v4, vcc_lo
	v_cmp_gt_u32_e32 vcc_lo, 28, v1
	ds_bpermute_b32 v4, v7, v2
	ds_bpermute_b32 v5, v7, v3
	v_add_nc_u32_e32 v7, 2, v1
	v_cndmask_b32_e64 v8, 0, 4, vcc_lo
	s_delay_alu instid0(VALU_DEP_2) | instskip(NEXT) | instid1(VALU_DEP_2)
	v_cmp_lt_u32_e32 vcc_lo, v7, v6
	v_add_lshl_u32 v7, v8, v1, 2
	s_wait_dscnt 0x0
	v_max_i32_e32 v5, v3, v5
	s_delay_alu instid0(VALU_DEP_1) | instskip(SKIP_4) | instid1(VALU_DEP_1)
	v_cndmask_b32_e32 v3, v3, v5, vcc_lo
	ds_bpermute_b32 v5, v7, v3
	s_wait_dscnt 0x0
	v_max_i32_e32 v5, v3, v5
	v_min_i32_e32 v4, v4, v2
	v_cndmask_b32_e32 v2, v2, v4, vcc_lo
	v_cmp_gt_u32_e32 vcc_lo, 24, v1
	ds_bpermute_b32 v4, v7, v2
	v_add_nc_u32_e32 v7, 4, v1
	v_cndmask_b32_e64 v8, 0, 8, vcc_lo
	s_delay_alu instid0(VALU_DEP_2) | instskip(NEXT) | instid1(VALU_DEP_2)
	v_cmp_lt_u32_e32 vcc_lo, v7, v6
	v_add_lshl_u32 v7, v8, v1, 2
	v_add_nc_u32_e32 v8, 8, v1
	s_wait_dscnt 0x0
	v_dual_cndmask_b32 v3, v3, v5 :: v_dual_min_i32 v4, v4, v2
	s_delay_alu instid0(VALU_DEP_1) | instskip(NEXT) | instid1(VALU_DEP_3)
	v_cndmask_b32_e32 v2, v2, v4, vcc_lo
	v_cmp_lt_u32_e32 vcc_lo, v8, v6
	ds_bpermute_b32 v5, v7, v2
	ds_bpermute_b32 v7, v7, v3
	s_wait_dscnt 0x1
	v_dual_lshlrev_b32 v4, 2, v1 :: v_dual_min_i32 v5, v5, v2
	s_wait_dscnt 0x0
	s_delay_alu instid0(VALU_DEP_1) | instskip(NEXT) | instid1(VALU_DEP_1)
	v_dual_cndmask_b32 v2, v2, v5 :: v_dual_max_i32 v7, v3, v7
	v_dual_cndmask_b32 v3, v3, v7, vcc_lo :: v_dual_bitop2_b32 v8, 64, v4 bitop3:0x54
	ds_bpermute_b32 v7, v8, v2
	ds_bpermute_b32 v5, v8, v3
	s_wait_dscnt 0x1
	v_dual_add_nc_u32 v8, 16, v1 :: v_dual_min_i32 v7, v7, v2
	s_wait_dscnt 0x0
	v_max_i32_e32 v5, v3, v5
	s_delay_alu instid0(VALU_DEP_2) | instskip(NEXT) | instid1(VALU_DEP_2)
	v_cmp_lt_u32_e32 vcc_lo, v8, v6
	v_dual_cndmask_b32 v2, v2, v7 :: v_dual_cndmask_b32 v3, v3, v5
	v_cmpx_eq_u32_e32 0, v1
; %bb.40:
	v_lshrrev_b32_e32 v5, 2, v0
	s_delay_alu instid0(VALU_DEP_1)
	v_and_b32_e32 v5, 56, v5
	ds_store_b64 v5, v[2:3]
; %bb.41:
	s_or_b32 exec_lo, exec_lo, s1
	s_delay_alu instid0(SALU_CYCLE_1)
	s_mov_b32 s1, exec_lo
	s_wait_dscnt 0x0
	s_barrier_signal -1
	s_barrier_wait -1
	v_cmpx_gt_u32_e32 8, v0
	s_cbranch_execz .LBB19_43
; %bb.42:
	v_dual_lshlrev_b32 v2, 3, v1 :: v_dual_bitop2_b32 v5, 7, v1 bitop3:0x40
	s_add_co_i32 s0, s0, 31
	s_delay_alu instid0(SALU_CYCLE_1)
	s_lshr_b32 s0, s0, 5
	ds_load_b64 v[2:3], v2
	v_cmp_ne_u32_e32 vcc_lo, 7, v5
	v_add_nc_u32_e32 v8, 1, v5
	v_add_co_ci_u32_e64 v6, null, 0, v1, vcc_lo
	v_cmp_gt_u32_e32 vcc_lo, 6, v5
	s_delay_alu instid0(VALU_DEP_2) | instskip(SKIP_2) | instid1(VALU_DEP_2)
	v_lshlrev_b32_e32 v6, 2, v6
	v_cndmask_b32_e64 v9, 0, 2, vcc_lo
	v_cmp_gt_u32_e32 vcc_lo, s0, v8
	v_add_lshl_u32 v1, v9, v1, 2
	s_wait_dscnt 0x0
	ds_bpermute_b32 v7, v6, v2
	ds_bpermute_b32 v6, v6, v3
	s_wait_dscnt 0x1
	v_min_i32_e32 v7, v7, v2
	s_wait_dscnt 0x0
	s_delay_alu instid0(VALU_DEP_1) | instskip(NEXT) | instid1(VALU_DEP_1)
	v_dual_cndmask_b32 v2, v2, v7, vcc_lo :: v_dual_max_i32 v6, v3, v6
	v_dual_cndmask_b32 v3, v3, v6, vcc_lo :: v_dual_add_nc_u32 v7, 2, v5
	v_add_nc_u32_e32 v5, 4, v5
	ds_bpermute_b32 v6, v1, v2
	ds_bpermute_b32 v1, v1, v3
	v_cmp_gt_u32_e32 vcc_lo, s0, v7
	s_wait_dscnt 0x0
	v_max_i32_e32 v1, v3, v1
	s_delay_alu instid0(VALU_DEP_1) | instskip(NEXT) | instid1(VALU_DEP_1)
	v_dual_cndmask_b32 v1, v3, v1 :: v_dual_min_i32 v6, v6, v2
	v_cndmask_b32_e32 v2, v2, v6, vcc_lo
	v_cmp_gt_u32_e32 vcc_lo, s0, v5
	v_or_b32_e32 v4, 16, v4
	ds_bpermute_b32 v3, v4, v1
	s_wait_dscnt 0x0
	v_max_i32_e32 v3, v1, v3
	s_delay_alu instid0(VALU_DEP_1) | instskip(SKIP_3) | instid1(VALU_DEP_1)
	v_cndmask_b32_e32 v3, v1, v3, vcc_lo
	ds_bpermute_b32 v4, v4, v2
	s_wait_dscnt 0x0
	v_min_i32_e32 v4, v4, v2
	v_cndmask_b32_e32 v2, v2, v4, vcc_lo
.LBB19_43:
	s_or_b32 exec_lo, exec_lo, s1
.LBB19_44:
	s_wait_xcnt 0x0
	s_mov_b32 s0, exec_lo
	v_cmpx_eq_u32_e32 0, v0
	s_cbranch_execz .LBB19_46
; %bb.45:
	s_mul_u64 s[0:1], s[20:21], s[18:19]
	s_delay_alu instid0(SALU_CYCLE_1)
	s_lshl_b64 s[0:1], s[0:1], 3
	s_cmp_eq_u64 s[14:15], 0
	s_add_nc_u64 s[0:1], s[16:17], s[0:1]
	s_cselect_b32 s2, -1, 0
	s_wait_kmcnt 0x0
	v_cndmask_b32_e64 v1, v3, s25, s2
	v_cndmask_b32_e64 v0, v2, s24, s2
	v_mov_b32_e32 v2, 0
	s_lshl_b64 s[2:3], s[22:23], 3
	s_delay_alu instid0(SALU_CYCLE_1)
	s_add_nc_u64 s[0:1], s[0:1], s[2:3]
	global_store_b64 v2, v[0:1], s[0:1]
.LBB19_46:
	s_endpgm
	.section	.rodata,"a",@progbits
	.p2align	6, 0x0
	.amdhsa_kernel _ZN7rocprim17ROCPRIM_400000_NS6detail17trampoline_kernelINS0_14default_configENS1_22reduce_config_selectorI11minmax_pairIiEEEZNS1_11reduce_implILb1ES3_N6thrust23THRUST_200600_302600_NS11hip_rocprim26transform_input_iterator_tIS6_NSA_6detail15normal_iteratorINSA_10device_ptrIiEEEE15minmax_unary_opIiEEEPS6_S6_16minmax_binary_opIiEEE10hipError_tPvRmT1_T2_T3_mT4_P12ihipStream_tbEUlT_E0_NS1_11comp_targetILNS1_3genE0ELNS1_11target_archE4294967295ELNS1_3gpuE0ELNS1_3repE0EEENS1_30default_config_static_selectorELNS0_4arch9wavefront6targetE0EEEvSR_
		.amdhsa_group_segment_fixed_size 128
		.amdhsa_private_segment_fixed_size 0
		.amdhsa_kernarg_size 72
		.amdhsa_user_sgpr_count 2
		.amdhsa_user_sgpr_dispatch_ptr 0
		.amdhsa_user_sgpr_queue_ptr 0
		.amdhsa_user_sgpr_kernarg_segment_ptr 1
		.amdhsa_user_sgpr_dispatch_id 0
		.amdhsa_user_sgpr_kernarg_preload_length 0
		.amdhsa_user_sgpr_kernarg_preload_offset 0
		.amdhsa_user_sgpr_private_segment_size 0
		.amdhsa_wavefront_size32 1
		.amdhsa_uses_dynamic_stack 0
		.amdhsa_enable_private_segment 0
		.amdhsa_system_sgpr_workgroup_id_x 1
		.amdhsa_system_sgpr_workgroup_id_y 0
		.amdhsa_system_sgpr_workgroup_id_z 0
		.amdhsa_system_sgpr_workgroup_info 0
		.amdhsa_system_vgpr_workitem_id 0
		.amdhsa_next_free_vgpr 20
		.amdhsa_next_free_sgpr 30
		.amdhsa_named_barrier_count 0
		.amdhsa_reserve_vcc 1
		.amdhsa_float_round_mode_32 0
		.amdhsa_float_round_mode_16_64 0
		.amdhsa_float_denorm_mode_32 3
		.amdhsa_float_denorm_mode_16_64 3
		.amdhsa_fp16_overflow 0
		.amdhsa_memory_ordered 1
		.amdhsa_forward_progress 1
		.amdhsa_inst_pref_size 23
		.amdhsa_round_robin_scheduling 0
		.amdhsa_exception_fp_ieee_invalid_op 0
		.amdhsa_exception_fp_denorm_src 0
		.amdhsa_exception_fp_ieee_div_zero 0
		.amdhsa_exception_fp_ieee_overflow 0
		.amdhsa_exception_fp_ieee_underflow 0
		.amdhsa_exception_fp_ieee_inexact 0
		.amdhsa_exception_int_div_zero 0
	.end_amdhsa_kernel
	.section	.text._ZN7rocprim17ROCPRIM_400000_NS6detail17trampoline_kernelINS0_14default_configENS1_22reduce_config_selectorI11minmax_pairIiEEEZNS1_11reduce_implILb1ES3_N6thrust23THRUST_200600_302600_NS11hip_rocprim26transform_input_iterator_tIS6_NSA_6detail15normal_iteratorINSA_10device_ptrIiEEEE15minmax_unary_opIiEEEPS6_S6_16minmax_binary_opIiEEE10hipError_tPvRmT1_T2_T3_mT4_P12ihipStream_tbEUlT_E0_NS1_11comp_targetILNS1_3genE0ELNS1_11target_archE4294967295ELNS1_3gpuE0ELNS1_3repE0EEENS1_30default_config_static_selectorELNS0_4arch9wavefront6targetE0EEEvSR_,"axG",@progbits,_ZN7rocprim17ROCPRIM_400000_NS6detail17trampoline_kernelINS0_14default_configENS1_22reduce_config_selectorI11minmax_pairIiEEEZNS1_11reduce_implILb1ES3_N6thrust23THRUST_200600_302600_NS11hip_rocprim26transform_input_iterator_tIS6_NSA_6detail15normal_iteratorINSA_10device_ptrIiEEEE15minmax_unary_opIiEEEPS6_S6_16minmax_binary_opIiEEE10hipError_tPvRmT1_T2_T3_mT4_P12ihipStream_tbEUlT_E0_NS1_11comp_targetILNS1_3genE0ELNS1_11target_archE4294967295ELNS1_3gpuE0ELNS1_3repE0EEENS1_30default_config_static_selectorELNS0_4arch9wavefront6targetE0EEEvSR_,comdat
.Lfunc_end19:
	.size	_ZN7rocprim17ROCPRIM_400000_NS6detail17trampoline_kernelINS0_14default_configENS1_22reduce_config_selectorI11minmax_pairIiEEEZNS1_11reduce_implILb1ES3_N6thrust23THRUST_200600_302600_NS11hip_rocprim26transform_input_iterator_tIS6_NSA_6detail15normal_iteratorINSA_10device_ptrIiEEEE15minmax_unary_opIiEEEPS6_S6_16minmax_binary_opIiEEE10hipError_tPvRmT1_T2_T3_mT4_P12ihipStream_tbEUlT_E0_NS1_11comp_targetILNS1_3genE0ELNS1_11target_archE4294967295ELNS1_3gpuE0ELNS1_3repE0EEENS1_30default_config_static_selectorELNS0_4arch9wavefront6targetE0EEEvSR_, .Lfunc_end19-_ZN7rocprim17ROCPRIM_400000_NS6detail17trampoline_kernelINS0_14default_configENS1_22reduce_config_selectorI11minmax_pairIiEEEZNS1_11reduce_implILb1ES3_N6thrust23THRUST_200600_302600_NS11hip_rocprim26transform_input_iterator_tIS6_NSA_6detail15normal_iteratorINSA_10device_ptrIiEEEE15minmax_unary_opIiEEEPS6_S6_16minmax_binary_opIiEEE10hipError_tPvRmT1_T2_T3_mT4_P12ihipStream_tbEUlT_E0_NS1_11comp_targetILNS1_3genE0ELNS1_11target_archE4294967295ELNS1_3gpuE0ELNS1_3repE0EEENS1_30default_config_static_selectorELNS0_4arch9wavefront6targetE0EEEvSR_
                                        ; -- End function
	.set _ZN7rocprim17ROCPRIM_400000_NS6detail17trampoline_kernelINS0_14default_configENS1_22reduce_config_selectorI11minmax_pairIiEEEZNS1_11reduce_implILb1ES3_N6thrust23THRUST_200600_302600_NS11hip_rocprim26transform_input_iterator_tIS6_NSA_6detail15normal_iteratorINSA_10device_ptrIiEEEE15minmax_unary_opIiEEEPS6_S6_16minmax_binary_opIiEEE10hipError_tPvRmT1_T2_T3_mT4_P12ihipStream_tbEUlT_E0_NS1_11comp_targetILNS1_3genE0ELNS1_11target_archE4294967295ELNS1_3gpuE0ELNS1_3repE0EEENS1_30default_config_static_selectorELNS0_4arch9wavefront6targetE0EEEvSR_.num_vgpr, 20
	.set _ZN7rocprim17ROCPRIM_400000_NS6detail17trampoline_kernelINS0_14default_configENS1_22reduce_config_selectorI11minmax_pairIiEEEZNS1_11reduce_implILb1ES3_N6thrust23THRUST_200600_302600_NS11hip_rocprim26transform_input_iterator_tIS6_NSA_6detail15normal_iteratorINSA_10device_ptrIiEEEE15minmax_unary_opIiEEEPS6_S6_16minmax_binary_opIiEEE10hipError_tPvRmT1_T2_T3_mT4_P12ihipStream_tbEUlT_E0_NS1_11comp_targetILNS1_3genE0ELNS1_11target_archE4294967295ELNS1_3gpuE0ELNS1_3repE0EEENS1_30default_config_static_selectorELNS0_4arch9wavefront6targetE0EEEvSR_.num_agpr, 0
	.set _ZN7rocprim17ROCPRIM_400000_NS6detail17trampoline_kernelINS0_14default_configENS1_22reduce_config_selectorI11minmax_pairIiEEEZNS1_11reduce_implILb1ES3_N6thrust23THRUST_200600_302600_NS11hip_rocprim26transform_input_iterator_tIS6_NSA_6detail15normal_iteratorINSA_10device_ptrIiEEEE15minmax_unary_opIiEEEPS6_S6_16minmax_binary_opIiEEE10hipError_tPvRmT1_T2_T3_mT4_P12ihipStream_tbEUlT_E0_NS1_11comp_targetILNS1_3genE0ELNS1_11target_archE4294967295ELNS1_3gpuE0ELNS1_3repE0EEENS1_30default_config_static_selectorELNS0_4arch9wavefront6targetE0EEEvSR_.numbered_sgpr, 30
	.set _ZN7rocprim17ROCPRIM_400000_NS6detail17trampoline_kernelINS0_14default_configENS1_22reduce_config_selectorI11minmax_pairIiEEEZNS1_11reduce_implILb1ES3_N6thrust23THRUST_200600_302600_NS11hip_rocprim26transform_input_iterator_tIS6_NSA_6detail15normal_iteratorINSA_10device_ptrIiEEEE15minmax_unary_opIiEEEPS6_S6_16minmax_binary_opIiEEE10hipError_tPvRmT1_T2_T3_mT4_P12ihipStream_tbEUlT_E0_NS1_11comp_targetILNS1_3genE0ELNS1_11target_archE4294967295ELNS1_3gpuE0ELNS1_3repE0EEENS1_30default_config_static_selectorELNS0_4arch9wavefront6targetE0EEEvSR_.num_named_barrier, 0
	.set _ZN7rocprim17ROCPRIM_400000_NS6detail17trampoline_kernelINS0_14default_configENS1_22reduce_config_selectorI11minmax_pairIiEEEZNS1_11reduce_implILb1ES3_N6thrust23THRUST_200600_302600_NS11hip_rocprim26transform_input_iterator_tIS6_NSA_6detail15normal_iteratorINSA_10device_ptrIiEEEE15minmax_unary_opIiEEEPS6_S6_16minmax_binary_opIiEEE10hipError_tPvRmT1_T2_T3_mT4_P12ihipStream_tbEUlT_E0_NS1_11comp_targetILNS1_3genE0ELNS1_11target_archE4294967295ELNS1_3gpuE0ELNS1_3repE0EEENS1_30default_config_static_selectorELNS0_4arch9wavefront6targetE0EEEvSR_.private_seg_size, 0
	.set _ZN7rocprim17ROCPRIM_400000_NS6detail17trampoline_kernelINS0_14default_configENS1_22reduce_config_selectorI11minmax_pairIiEEEZNS1_11reduce_implILb1ES3_N6thrust23THRUST_200600_302600_NS11hip_rocprim26transform_input_iterator_tIS6_NSA_6detail15normal_iteratorINSA_10device_ptrIiEEEE15minmax_unary_opIiEEEPS6_S6_16minmax_binary_opIiEEE10hipError_tPvRmT1_T2_T3_mT4_P12ihipStream_tbEUlT_E0_NS1_11comp_targetILNS1_3genE0ELNS1_11target_archE4294967295ELNS1_3gpuE0ELNS1_3repE0EEENS1_30default_config_static_selectorELNS0_4arch9wavefront6targetE0EEEvSR_.uses_vcc, 1
	.set _ZN7rocprim17ROCPRIM_400000_NS6detail17trampoline_kernelINS0_14default_configENS1_22reduce_config_selectorI11minmax_pairIiEEEZNS1_11reduce_implILb1ES3_N6thrust23THRUST_200600_302600_NS11hip_rocprim26transform_input_iterator_tIS6_NSA_6detail15normal_iteratorINSA_10device_ptrIiEEEE15minmax_unary_opIiEEEPS6_S6_16minmax_binary_opIiEEE10hipError_tPvRmT1_T2_T3_mT4_P12ihipStream_tbEUlT_E0_NS1_11comp_targetILNS1_3genE0ELNS1_11target_archE4294967295ELNS1_3gpuE0ELNS1_3repE0EEENS1_30default_config_static_selectorELNS0_4arch9wavefront6targetE0EEEvSR_.uses_flat_scratch, 1
	.set _ZN7rocprim17ROCPRIM_400000_NS6detail17trampoline_kernelINS0_14default_configENS1_22reduce_config_selectorI11minmax_pairIiEEEZNS1_11reduce_implILb1ES3_N6thrust23THRUST_200600_302600_NS11hip_rocprim26transform_input_iterator_tIS6_NSA_6detail15normal_iteratorINSA_10device_ptrIiEEEE15minmax_unary_opIiEEEPS6_S6_16minmax_binary_opIiEEE10hipError_tPvRmT1_T2_T3_mT4_P12ihipStream_tbEUlT_E0_NS1_11comp_targetILNS1_3genE0ELNS1_11target_archE4294967295ELNS1_3gpuE0ELNS1_3repE0EEENS1_30default_config_static_selectorELNS0_4arch9wavefront6targetE0EEEvSR_.has_dyn_sized_stack, 0
	.set _ZN7rocprim17ROCPRIM_400000_NS6detail17trampoline_kernelINS0_14default_configENS1_22reduce_config_selectorI11minmax_pairIiEEEZNS1_11reduce_implILb1ES3_N6thrust23THRUST_200600_302600_NS11hip_rocprim26transform_input_iterator_tIS6_NSA_6detail15normal_iteratorINSA_10device_ptrIiEEEE15minmax_unary_opIiEEEPS6_S6_16minmax_binary_opIiEEE10hipError_tPvRmT1_T2_T3_mT4_P12ihipStream_tbEUlT_E0_NS1_11comp_targetILNS1_3genE0ELNS1_11target_archE4294967295ELNS1_3gpuE0ELNS1_3repE0EEENS1_30default_config_static_selectorELNS0_4arch9wavefront6targetE0EEEvSR_.has_recursion, 0
	.set _ZN7rocprim17ROCPRIM_400000_NS6detail17trampoline_kernelINS0_14default_configENS1_22reduce_config_selectorI11minmax_pairIiEEEZNS1_11reduce_implILb1ES3_N6thrust23THRUST_200600_302600_NS11hip_rocprim26transform_input_iterator_tIS6_NSA_6detail15normal_iteratorINSA_10device_ptrIiEEEE15minmax_unary_opIiEEEPS6_S6_16minmax_binary_opIiEEE10hipError_tPvRmT1_T2_T3_mT4_P12ihipStream_tbEUlT_E0_NS1_11comp_targetILNS1_3genE0ELNS1_11target_archE4294967295ELNS1_3gpuE0ELNS1_3repE0EEENS1_30default_config_static_selectorELNS0_4arch9wavefront6targetE0EEEvSR_.has_indirect_call, 0
	.section	.AMDGPU.csdata,"",@progbits
; Kernel info:
; codeLenInByte = 2916
; TotalNumSgprs: 32
; NumVgprs: 20
; ScratchSize: 0
; MemoryBound: 0
; FloatMode: 240
; IeeeMode: 1
; LDSByteSize: 128 bytes/workgroup (compile time only)
; SGPRBlocks: 0
; VGPRBlocks: 1
; NumSGPRsForWavesPerEU: 32
; NumVGPRsForWavesPerEU: 20
; NamedBarCnt: 0
; Occupancy: 16
; WaveLimiterHint : 1
; COMPUTE_PGM_RSRC2:SCRATCH_EN: 0
; COMPUTE_PGM_RSRC2:USER_SGPR: 2
; COMPUTE_PGM_RSRC2:TRAP_HANDLER: 0
; COMPUTE_PGM_RSRC2:TGID_X_EN: 1
; COMPUTE_PGM_RSRC2:TGID_Y_EN: 0
; COMPUTE_PGM_RSRC2:TGID_Z_EN: 0
; COMPUTE_PGM_RSRC2:TIDIG_COMP_CNT: 0
	.section	.text._ZN7rocprim17ROCPRIM_400000_NS6detail17trampoline_kernelINS0_14default_configENS1_22reduce_config_selectorI11minmax_pairIiEEEZNS1_11reduce_implILb1ES3_N6thrust23THRUST_200600_302600_NS11hip_rocprim26transform_input_iterator_tIS6_NSA_6detail15normal_iteratorINSA_10device_ptrIiEEEE15minmax_unary_opIiEEEPS6_S6_16minmax_binary_opIiEEE10hipError_tPvRmT1_T2_T3_mT4_P12ihipStream_tbEUlT_E0_NS1_11comp_targetILNS1_3genE5ELNS1_11target_archE942ELNS1_3gpuE9ELNS1_3repE0EEENS1_30default_config_static_selectorELNS0_4arch9wavefront6targetE0EEEvSR_,"axG",@progbits,_ZN7rocprim17ROCPRIM_400000_NS6detail17trampoline_kernelINS0_14default_configENS1_22reduce_config_selectorI11minmax_pairIiEEEZNS1_11reduce_implILb1ES3_N6thrust23THRUST_200600_302600_NS11hip_rocprim26transform_input_iterator_tIS6_NSA_6detail15normal_iteratorINSA_10device_ptrIiEEEE15minmax_unary_opIiEEEPS6_S6_16minmax_binary_opIiEEE10hipError_tPvRmT1_T2_T3_mT4_P12ihipStream_tbEUlT_E0_NS1_11comp_targetILNS1_3genE5ELNS1_11target_archE942ELNS1_3gpuE9ELNS1_3repE0EEENS1_30default_config_static_selectorELNS0_4arch9wavefront6targetE0EEEvSR_,comdat
	.protected	_ZN7rocprim17ROCPRIM_400000_NS6detail17trampoline_kernelINS0_14default_configENS1_22reduce_config_selectorI11minmax_pairIiEEEZNS1_11reduce_implILb1ES3_N6thrust23THRUST_200600_302600_NS11hip_rocprim26transform_input_iterator_tIS6_NSA_6detail15normal_iteratorINSA_10device_ptrIiEEEE15minmax_unary_opIiEEEPS6_S6_16minmax_binary_opIiEEE10hipError_tPvRmT1_T2_T3_mT4_P12ihipStream_tbEUlT_E0_NS1_11comp_targetILNS1_3genE5ELNS1_11target_archE942ELNS1_3gpuE9ELNS1_3repE0EEENS1_30default_config_static_selectorELNS0_4arch9wavefront6targetE0EEEvSR_ ; -- Begin function _ZN7rocprim17ROCPRIM_400000_NS6detail17trampoline_kernelINS0_14default_configENS1_22reduce_config_selectorI11minmax_pairIiEEEZNS1_11reduce_implILb1ES3_N6thrust23THRUST_200600_302600_NS11hip_rocprim26transform_input_iterator_tIS6_NSA_6detail15normal_iteratorINSA_10device_ptrIiEEEE15minmax_unary_opIiEEEPS6_S6_16minmax_binary_opIiEEE10hipError_tPvRmT1_T2_T3_mT4_P12ihipStream_tbEUlT_E0_NS1_11comp_targetILNS1_3genE5ELNS1_11target_archE942ELNS1_3gpuE9ELNS1_3repE0EEENS1_30default_config_static_selectorELNS0_4arch9wavefront6targetE0EEEvSR_
	.globl	_ZN7rocprim17ROCPRIM_400000_NS6detail17trampoline_kernelINS0_14default_configENS1_22reduce_config_selectorI11minmax_pairIiEEEZNS1_11reduce_implILb1ES3_N6thrust23THRUST_200600_302600_NS11hip_rocprim26transform_input_iterator_tIS6_NSA_6detail15normal_iteratorINSA_10device_ptrIiEEEE15minmax_unary_opIiEEEPS6_S6_16minmax_binary_opIiEEE10hipError_tPvRmT1_T2_T3_mT4_P12ihipStream_tbEUlT_E0_NS1_11comp_targetILNS1_3genE5ELNS1_11target_archE942ELNS1_3gpuE9ELNS1_3repE0EEENS1_30default_config_static_selectorELNS0_4arch9wavefront6targetE0EEEvSR_
	.p2align	8
	.type	_ZN7rocprim17ROCPRIM_400000_NS6detail17trampoline_kernelINS0_14default_configENS1_22reduce_config_selectorI11minmax_pairIiEEEZNS1_11reduce_implILb1ES3_N6thrust23THRUST_200600_302600_NS11hip_rocprim26transform_input_iterator_tIS6_NSA_6detail15normal_iteratorINSA_10device_ptrIiEEEE15minmax_unary_opIiEEEPS6_S6_16minmax_binary_opIiEEE10hipError_tPvRmT1_T2_T3_mT4_P12ihipStream_tbEUlT_E0_NS1_11comp_targetILNS1_3genE5ELNS1_11target_archE942ELNS1_3gpuE9ELNS1_3repE0EEENS1_30default_config_static_selectorELNS0_4arch9wavefront6targetE0EEEvSR_,@function
_ZN7rocprim17ROCPRIM_400000_NS6detail17trampoline_kernelINS0_14default_configENS1_22reduce_config_selectorI11minmax_pairIiEEEZNS1_11reduce_implILb1ES3_N6thrust23THRUST_200600_302600_NS11hip_rocprim26transform_input_iterator_tIS6_NSA_6detail15normal_iteratorINSA_10device_ptrIiEEEE15minmax_unary_opIiEEEPS6_S6_16minmax_binary_opIiEEE10hipError_tPvRmT1_T2_T3_mT4_P12ihipStream_tbEUlT_E0_NS1_11comp_targetILNS1_3genE5ELNS1_11target_archE942ELNS1_3gpuE9ELNS1_3repE0EEENS1_30default_config_static_selectorELNS0_4arch9wavefront6targetE0EEEvSR_: ; @_ZN7rocprim17ROCPRIM_400000_NS6detail17trampoline_kernelINS0_14default_configENS1_22reduce_config_selectorI11minmax_pairIiEEEZNS1_11reduce_implILb1ES3_N6thrust23THRUST_200600_302600_NS11hip_rocprim26transform_input_iterator_tIS6_NSA_6detail15normal_iteratorINSA_10device_ptrIiEEEE15minmax_unary_opIiEEEPS6_S6_16minmax_binary_opIiEEE10hipError_tPvRmT1_T2_T3_mT4_P12ihipStream_tbEUlT_E0_NS1_11comp_targetILNS1_3genE5ELNS1_11target_archE942ELNS1_3gpuE9ELNS1_3repE0EEENS1_30default_config_static_selectorELNS0_4arch9wavefront6targetE0EEEvSR_
; %bb.0:
	.section	.rodata,"a",@progbits
	.p2align	6, 0x0
	.amdhsa_kernel _ZN7rocprim17ROCPRIM_400000_NS6detail17trampoline_kernelINS0_14default_configENS1_22reduce_config_selectorI11minmax_pairIiEEEZNS1_11reduce_implILb1ES3_N6thrust23THRUST_200600_302600_NS11hip_rocprim26transform_input_iterator_tIS6_NSA_6detail15normal_iteratorINSA_10device_ptrIiEEEE15minmax_unary_opIiEEEPS6_S6_16minmax_binary_opIiEEE10hipError_tPvRmT1_T2_T3_mT4_P12ihipStream_tbEUlT_E0_NS1_11comp_targetILNS1_3genE5ELNS1_11target_archE942ELNS1_3gpuE9ELNS1_3repE0EEENS1_30default_config_static_selectorELNS0_4arch9wavefront6targetE0EEEvSR_
		.amdhsa_group_segment_fixed_size 0
		.amdhsa_private_segment_fixed_size 0
		.amdhsa_kernarg_size 72
		.amdhsa_user_sgpr_count 2
		.amdhsa_user_sgpr_dispatch_ptr 0
		.amdhsa_user_sgpr_queue_ptr 0
		.amdhsa_user_sgpr_kernarg_segment_ptr 1
		.amdhsa_user_sgpr_dispatch_id 0
		.amdhsa_user_sgpr_kernarg_preload_length 0
		.amdhsa_user_sgpr_kernarg_preload_offset 0
		.amdhsa_user_sgpr_private_segment_size 0
		.amdhsa_wavefront_size32 1
		.amdhsa_uses_dynamic_stack 0
		.amdhsa_enable_private_segment 0
		.amdhsa_system_sgpr_workgroup_id_x 1
		.amdhsa_system_sgpr_workgroup_id_y 0
		.amdhsa_system_sgpr_workgroup_id_z 0
		.amdhsa_system_sgpr_workgroup_info 0
		.amdhsa_system_vgpr_workitem_id 0
		.amdhsa_next_free_vgpr 1
		.amdhsa_next_free_sgpr 1
		.amdhsa_named_barrier_count 0
		.amdhsa_reserve_vcc 0
		.amdhsa_float_round_mode_32 0
		.amdhsa_float_round_mode_16_64 0
		.amdhsa_float_denorm_mode_32 3
		.amdhsa_float_denorm_mode_16_64 3
		.amdhsa_fp16_overflow 0
		.amdhsa_memory_ordered 1
		.amdhsa_forward_progress 1
		.amdhsa_inst_pref_size 0
		.amdhsa_round_robin_scheduling 0
		.amdhsa_exception_fp_ieee_invalid_op 0
		.amdhsa_exception_fp_denorm_src 0
		.amdhsa_exception_fp_ieee_div_zero 0
		.amdhsa_exception_fp_ieee_overflow 0
		.amdhsa_exception_fp_ieee_underflow 0
		.amdhsa_exception_fp_ieee_inexact 0
		.amdhsa_exception_int_div_zero 0
	.end_amdhsa_kernel
	.section	.text._ZN7rocprim17ROCPRIM_400000_NS6detail17trampoline_kernelINS0_14default_configENS1_22reduce_config_selectorI11minmax_pairIiEEEZNS1_11reduce_implILb1ES3_N6thrust23THRUST_200600_302600_NS11hip_rocprim26transform_input_iterator_tIS6_NSA_6detail15normal_iteratorINSA_10device_ptrIiEEEE15minmax_unary_opIiEEEPS6_S6_16minmax_binary_opIiEEE10hipError_tPvRmT1_T2_T3_mT4_P12ihipStream_tbEUlT_E0_NS1_11comp_targetILNS1_3genE5ELNS1_11target_archE942ELNS1_3gpuE9ELNS1_3repE0EEENS1_30default_config_static_selectorELNS0_4arch9wavefront6targetE0EEEvSR_,"axG",@progbits,_ZN7rocprim17ROCPRIM_400000_NS6detail17trampoline_kernelINS0_14default_configENS1_22reduce_config_selectorI11minmax_pairIiEEEZNS1_11reduce_implILb1ES3_N6thrust23THRUST_200600_302600_NS11hip_rocprim26transform_input_iterator_tIS6_NSA_6detail15normal_iteratorINSA_10device_ptrIiEEEE15minmax_unary_opIiEEEPS6_S6_16minmax_binary_opIiEEE10hipError_tPvRmT1_T2_T3_mT4_P12ihipStream_tbEUlT_E0_NS1_11comp_targetILNS1_3genE5ELNS1_11target_archE942ELNS1_3gpuE9ELNS1_3repE0EEENS1_30default_config_static_selectorELNS0_4arch9wavefront6targetE0EEEvSR_,comdat
.Lfunc_end20:
	.size	_ZN7rocprim17ROCPRIM_400000_NS6detail17trampoline_kernelINS0_14default_configENS1_22reduce_config_selectorI11minmax_pairIiEEEZNS1_11reduce_implILb1ES3_N6thrust23THRUST_200600_302600_NS11hip_rocprim26transform_input_iterator_tIS6_NSA_6detail15normal_iteratorINSA_10device_ptrIiEEEE15minmax_unary_opIiEEEPS6_S6_16minmax_binary_opIiEEE10hipError_tPvRmT1_T2_T3_mT4_P12ihipStream_tbEUlT_E0_NS1_11comp_targetILNS1_3genE5ELNS1_11target_archE942ELNS1_3gpuE9ELNS1_3repE0EEENS1_30default_config_static_selectorELNS0_4arch9wavefront6targetE0EEEvSR_, .Lfunc_end20-_ZN7rocprim17ROCPRIM_400000_NS6detail17trampoline_kernelINS0_14default_configENS1_22reduce_config_selectorI11minmax_pairIiEEEZNS1_11reduce_implILb1ES3_N6thrust23THRUST_200600_302600_NS11hip_rocprim26transform_input_iterator_tIS6_NSA_6detail15normal_iteratorINSA_10device_ptrIiEEEE15minmax_unary_opIiEEEPS6_S6_16minmax_binary_opIiEEE10hipError_tPvRmT1_T2_T3_mT4_P12ihipStream_tbEUlT_E0_NS1_11comp_targetILNS1_3genE5ELNS1_11target_archE942ELNS1_3gpuE9ELNS1_3repE0EEENS1_30default_config_static_selectorELNS0_4arch9wavefront6targetE0EEEvSR_
                                        ; -- End function
	.set _ZN7rocprim17ROCPRIM_400000_NS6detail17trampoline_kernelINS0_14default_configENS1_22reduce_config_selectorI11minmax_pairIiEEEZNS1_11reduce_implILb1ES3_N6thrust23THRUST_200600_302600_NS11hip_rocprim26transform_input_iterator_tIS6_NSA_6detail15normal_iteratorINSA_10device_ptrIiEEEE15minmax_unary_opIiEEEPS6_S6_16minmax_binary_opIiEEE10hipError_tPvRmT1_T2_T3_mT4_P12ihipStream_tbEUlT_E0_NS1_11comp_targetILNS1_3genE5ELNS1_11target_archE942ELNS1_3gpuE9ELNS1_3repE0EEENS1_30default_config_static_selectorELNS0_4arch9wavefront6targetE0EEEvSR_.num_vgpr, 0
	.set _ZN7rocprim17ROCPRIM_400000_NS6detail17trampoline_kernelINS0_14default_configENS1_22reduce_config_selectorI11minmax_pairIiEEEZNS1_11reduce_implILb1ES3_N6thrust23THRUST_200600_302600_NS11hip_rocprim26transform_input_iterator_tIS6_NSA_6detail15normal_iteratorINSA_10device_ptrIiEEEE15minmax_unary_opIiEEEPS6_S6_16minmax_binary_opIiEEE10hipError_tPvRmT1_T2_T3_mT4_P12ihipStream_tbEUlT_E0_NS1_11comp_targetILNS1_3genE5ELNS1_11target_archE942ELNS1_3gpuE9ELNS1_3repE0EEENS1_30default_config_static_selectorELNS0_4arch9wavefront6targetE0EEEvSR_.num_agpr, 0
	.set _ZN7rocprim17ROCPRIM_400000_NS6detail17trampoline_kernelINS0_14default_configENS1_22reduce_config_selectorI11minmax_pairIiEEEZNS1_11reduce_implILb1ES3_N6thrust23THRUST_200600_302600_NS11hip_rocprim26transform_input_iterator_tIS6_NSA_6detail15normal_iteratorINSA_10device_ptrIiEEEE15minmax_unary_opIiEEEPS6_S6_16minmax_binary_opIiEEE10hipError_tPvRmT1_T2_T3_mT4_P12ihipStream_tbEUlT_E0_NS1_11comp_targetILNS1_3genE5ELNS1_11target_archE942ELNS1_3gpuE9ELNS1_3repE0EEENS1_30default_config_static_selectorELNS0_4arch9wavefront6targetE0EEEvSR_.numbered_sgpr, 0
	.set _ZN7rocprim17ROCPRIM_400000_NS6detail17trampoline_kernelINS0_14default_configENS1_22reduce_config_selectorI11minmax_pairIiEEEZNS1_11reduce_implILb1ES3_N6thrust23THRUST_200600_302600_NS11hip_rocprim26transform_input_iterator_tIS6_NSA_6detail15normal_iteratorINSA_10device_ptrIiEEEE15minmax_unary_opIiEEEPS6_S6_16minmax_binary_opIiEEE10hipError_tPvRmT1_T2_T3_mT4_P12ihipStream_tbEUlT_E0_NS1_11comp_targetILNS1_3genE5ELNS1_11target_archE942ELNS1_3gpuE9ELNS1_3repE0EEENS1_30default_config_static_selectorELNS0_4arch9wavefront6targetE0EEEvSR_.num_named_barrier, 0
	.set _ZN7rocprim17ROCPRIM_400000_NS6detail17trampoline_kernelINS0_14default_configENS1_22reduce_config_selectorI11minmax_pairIiEEEZNS1_11reduce_implILb1ES3_N6thrust23THRUST_200600_302600_NS11hip_rocprim26transform_input_iterator_tIS6_NSA_6detail15normal_iteratorINSA_10device_ptrIiEEEE15minmax_unary_opIiEEEPS6_S6_16minmax_binary_opIiEEE10hipError_tPvRmT1_T2_T3_mT4_P12ihipStream_tbEUlT_E0_NS1_11comp_targetILNS1_3genE5ELNS1_11target_archE942ELNS1_3gpuE9ELNS1_3repE0EEENS1_30default_config_static_selectorELNS0_4arch9wavefront6targetE0EEEvSR_.private_seg_size, 0
	.set _ZN7rocprim17ROCPRIM_400000_NS6detail17trampoline_kernelINS0_14default_configENS1_22reduce_config_selectorI11minmax_pairIiEEEZNS1_11reduce_implILb1ES3_N6thrust23THRUST_200600_302600_NS11hip_rocprim26transform_input_iterator_tIS6_NSA_6detail15normal_iteratorINSA_10device_ptrIiEEEE15minmax_unary_opIiEEEPS6_S6_16minmax_binary_opIiEEE10hipError_tPvRmT1_T2_T3_mT4_P12ihipStream_tbEUlT_E0_NS1_11comp_targetILNS1_3genE5ELNS1_11target_archE942ELNS1_3gpuE9ELNS1_3repE0EEENS1_30default_config_static_selectorELNS0_4arch9wavefront6targetE0EEEvSR_.uses_vcc, 0
	.set _ZN7rocprim17ROCPRIM_400000_NS6detail17trampoline_kernelINS0_14default_configENS1_22reduce_config_selectorI11minmax_pairIiEEEZNS1_11reduce_implILb1ES3_N6thrust23THRUST_200600_302600_NS11hip_rocprim26transform_input_iterator_tIS6_NSA_6detail15normal_iteratorINSA_10device_ptrIiEEEE15minmax_unary_opIiEEEPS6_S6_16minmax_binary_opIiEEE10hipError_tPvRmT1_T2_T3_mT4_P12ihipStream_tbEUlT_E0_NS1_11comp_targetILNS1_3genE5ELNS1_11target_archE942ELNS1_3gpuE9ELNS1_3repE0EEENS1_30default_config_static_selectorELNS0_4arch9wavefront6targetE0EEEvSR_.uses_flat_scratch, 0
	.set _ZN7rocprim17ROCPRIM_400000_NS6detail17trampoline_kernelINS0_14default_configENS1_22reduce_config_selectorI11minmax_pairIiEEEZNS1_11reduce_implILb1ES3_N6thrust23THRUST_200600_302600_NS11hip_rocprim26transform_input_iterator_tIS6_NSA_6detail15normal_iteratorINSA_10device_ptrIiEEEE15minmax_unary_opIiEEEPS6_S6_16minmax_binary_opIiEEE10hipError_tPvRmT1_T2_T3_mT4_P12ihipStream_tbEUlT_E0_NS1_11comp_targetILNS1_3genE5ELNS1_11target_archE942ELNS1_3gpuE9ELNS1_3repE0EEENS1_30default_config_static_selectorELNS0_4arch9wavefront6targetE0EEEvSR_.has_dyn_sized_stack, 0
	.set _ZN7rocprim17ROCPRIM_400000_NS6detail17trampoline_kernelINS0_14default_configENS1_22reduce_config_selectorI11minmax_pairIiEEEZNS1_11reduce_implILb1ES3_N6thrust23THRUST_200600_302600_NS11hip_rocprim26transform_input_iterator_tIS6_NSA_6detail15normal_iteratorINSA_10device_ptrIiEEEE15minmax_unary_opIiEEEPS6_S6_16minmax_binary_opIiEEE10hipError_tPvRmT1_T2_T3_mT4_P12ihipStream_tbEUlT_E0_NS1_11comp_targetILNS1_3genE5ELNS1_11target_archE942ELNS1_3gpuE9ELNS1_3repE0EEENS1_30default_config_static_selectorELNS0_4arch9wavefront6targetE0EEEvSR_.has_recursion, 0
	.set _ZN7rocprim17ROCPRIM_400000_NS6detail17trampoline_kernelINS0_14default_configENS1_22reduce_config_selectorI11minmax_pairIiEEEZNS1_11reduce_implILb1ES3_N6thrust23THRUST_200600_302600_NS11hip_rocprim26transform_input_iterator_tIS6_NSA_6detail15normal_iteratorINSA_10device_ptrIiEEEE15minmax_unary_opIiEEEPS6_S6_16minmax_binary_opIiEEE10hipError_tPvRmT1_T2_T3_mT4_P12ihipStream_tbEUlT_E0_NS1_11comp_targetILNS1_3genE5ELNS1_11target_archE942ELNS1_3gpuE9ELNS1_3repE0EEENS1_30default_config_static_selectorELNS0_4arch9wavefront6targetE0EEEvSR_.has_indirect_call, 0
	.section	.AMDGPU.csdata,"",@progbits
; Kernel info:
; codeLenInByte = 0
; TotalNumSgprs: 0
; NumVgprs: 0
; ScratchSize: 0
; MemoryBound: 0
; FloatMode: 240
; IeeeMode: 1
; LDSByteSize: 0 bytes/workgroup (compile time only)
; SGPRBlocks: 0
; VGPRBlocks: 0
; NumSGPRsForWavesPerEU: 1
; NumVGPRsForWavesPerEU: 1
; NamedBarCnt: 0
; Occupancy: 16
; WaveLimiterHint : 0
; COMPUTE_PGM_RSRC2:SCRATCH_EN: 0
; COMPUTE_PGM_RSRC2:USER_SGPR: 2
; COMPUTE_PGM_RSRC2:TRAP_HANDLER: 0
; COMPUTE_PGM_RSRC2:TGID_X_EN: 1
; COMPUTE_PGM_RSRC2:TGID_Y_EN: 0
; COMPUTE_PGM_RSRC2:TGID_Z_EN: 0
; COMPUTE_PGM_RSRC2:TIDIG_COMP_CNT: 0
	.section	.text._ZN7rocprim17ROCPRIM_400000_NS6detail17trampoline_kernelINS0_14default_configENS1_22reduce_config_selectorI11minmax_pairIiEEEZNS1_11reduce_implILb1ES3_N6thrust23THRUST_200600_302600_NS11hip_rocprim26transform_input_iterator_tIS6_NSA_6detail15normal_iteratorINSA_10device_ptrIiEEEE15minmax_unary_opIiEEEPS6_S6_16minmax_binary_opIiEEE10hipError_tPvRmT1_T2_T3_mT4_P12ihipStream_tbEUlT_E0_NS1_11comp_targetILNS1_3genE4ELNS1_11target_archE910ELNS1_3gpuE8ELNS1_3repE0EEENS1_30default_config_static_selectorELNS0_4arch9wavefront6targetE0EEEvSR_,"axG",@progbits,_ZN7rocprim17ROCPRIM_400000_NS6detail17trampoline_kernelINS0_14default_configENS1_22reduce_config_selectorI11minmax_pairIiEEEZNS1_11reduce_implILb1ES3_N6thrust23THRUST_200600_302600_NS11hip_rocprim26transform_input_iterator_tIS6_NSA_6detail15normal_iteratorINSA_10device_ptrIiEEEE15minmax_unary_opIiEEEPS6_S6_16minmax_binary_opIiEEE10hipError_tPvRmT1_T2_T3_mT4_P12ihipStream_tbEUlT_E0_NS1_11comp_targetILNS1_3genE4ELNS1_11target_archE910ELNS1_3gpuE8ELNS1_3repE0EEENS1_30default_config_static_selectorELNS0_4arch9wavefront6targetE0EEEvSR_,comdat
	.protected	_ZN7rocprim17ROCPRIM_400000_NS6detail17trampoline_kernelINS0_14default_configENS1_22reduce_config_selectorI11minmax_pairIiEEEZNS1_11reduce_implILb1ES3_N6thrust23THRUST_200600_302600_NS11hip_rocprim26transform_input_iterator_tIS6_NSA_6detail15normal_iteratorINSA_10device_ptrIiEEEE15minmax_unary_opIiEEEPS6_S6_16minmax_binary_opIiEEE10hipError_tPvRmT1_T2_T3_mT4_P12ihipStream_tbEUlT_E0_NS1_11comp_targetILNS1_3genE4ELNS1_11target_archE910ELNS1_3gpuE8ELNS1_3repE0EEENS1_30default_config_static_selectorELNS0_4arch9wavefront6targetE0EEEvSR_ ; -- Begin function _ZN7rocprim17ROCPRIM_400000_NS6detail17trampoline_kernelINS0_14default_configENS1_22reduce_config_selectorI11minmax_pairIiEEEZNS1_11reduce_implILb1ES3_N6thrust23THRUST_200600_302600_NS11hip_rocprim26transform_input_iterator_tIS6_NSA_6detail15normal_iteratorINSA_10device_ptrIiEEEE15minmax_unary_opIiEEEPS6_S6_16minmax_binary_opIiEEE10hipError_tPvRmT1_T2_T3_mT4_P12ihipStream_tbEUlT_E0_NS1_11comp_targetILNS1_3genE4ELNS1_11target_archE910ELNS1_3gpuE8ELNS1_3repE0EEENS1_30default_config_static_selectorELNS0_4arch9wavefront6targetE0EEEvSR_
	.globl	_ZN7rocprim17ROCPRIM_400000_NS6detail17trampoline_kernelINS0_14default_configENS1_22reduce_config_selectorI11minmax_pairIiEEEZNS1_11reduce_implILb1ES3_N6thrust23THRUST_200600_302600_NS11hip_rocprim26transform_input_iterator_tIS6_NSA_6detail15normal_iteratorINSA_10device_ptrIiEEEE15minmax_unary_opIiEEEPS6_S6_16minmax_binary_opIiEEE10hipError_tPvRmT1_T2_T3_mT4_P12ihipStream_tbEUlT_E0_NS1_11comp_targetILNS1_3genE4ELNS1_11target_archE910ELNS1_3gpuE8ELNS1_3repE0EEENS1_30default_config_static_selectorELNS0_4arch9wavefront6targetE0EEEvSR_
	.p2align	8
	.type	_ZN7rocprim17ROCPRIM_400000_NS6detail17trampoline_kernelINS0_14default_configENS1_22reduce_config_selectorI11minmax_pairIiEEEZNS1_11reduce_implILb1ES3_N6thrust23THRUST_200600_302600_NS11hip_rocprim26transform_input_iterator_tIS6_NSA_6detail15normal_iteratorINSA_10device_ptrIiEEEE15minmax_unary_opIiEEEPS6_S6_16minmax_binary_opIiEEE10hipError_tPvRmT1_T2_T3_mT4_P12ihipStream_tbEUlT_E0_NS1_11comp_targetILNS1_3genE4ELNS1_11target_archE910ELNS1_3gpuE8ELNS1_3repE0EEENS1_30default_config_static_selectorELNS0_4arch9wavefront6targetE0EEEvSR_,@function
_ZN7rocprim17ROCPRIM_400000_NS6detail17trampoline_kernelINS0_14default_configENS1_22reduce_config_selectorI11minmax_pairIiEEEZNS1_11reduce_implILb1ES3_N6thrust23THRUST_200600_302600_NS11hip_rocprim26transform_input_iterator_tIS6_NSA_6detail15normal_iteratorINSA_10device_ptrIiEEEE15minmax_unary_opIiEEEPS6_S6_16minmax_binary_opIiEEE10hipError_tPvRmT1_T2_T3_mT4_P12ihipStream_tbEUlT_E0_NS1_11comp_targetILNS1_3genE4ELNS1_11target_archE910ELNS1_3gpuE8ELNS1_3repE0EEENS1_30default_config_static_selectorELNS0_4arch9wavefront6targetE0EEEvSR_: ; @_ZN7rocprim17ROCPRIM_400000_NS6detail17trampoline_kernelINS0_14default_configENS1_22reduce_config_selectorI11minmax_pairIiEEEZNS1_11reduce_implILb1ES3_N6thrust23THRUST_200600_302600_NS11hip_rocprim26transform_input_iterator_tIS6_NSA_6detail15normal_iteratorINSA_10device_ptrIiEEEE15minmax_unary_opIiEEEPS6_S6_16minmax_binary_opIiEEE10hipError_tPvRmT1_T2_T3_mT4_P12ihipStream_tbEUlT_E0_NS1_11comp_targetILNS1_3genE4ELNS1_11target_archE910ELNS1_3gpuE8ELNS1_3repE0EEENS1_30default_config_static_selectorELNS0_4arch9wavefront6targetE0EEEvSR_
; %bb.0:
	.section	.rodata,"a",@progbits
	.p2align	6, 0x0
	.amdhsa_kernel _ZN7rocprim17ROCPRIM_400000_NS6detail17trampoline_kernelINS0_14default_configENS1_22reduce_config_selectorI11minmax_pairIiEEEZNS1_11reduce_implILb1ES3_N6thrust23THRUST_200600_302600_NS11hip_rocprim26transform_input_iterator_tIS6_NSA_6detail15normal_iteratorINSA_10device_ptrIiEEEE15minmax_unary_opIiEEEPS6_S6_16minmax_binary_opIiEEE10hipError_tPvRmT1_T2_T3_mT4_P12ihipStream_tbEUlT_E0_NS1_11comp_targetILNS1_3genE4ELNS1_11target_archE910ELNS1_3gpuE8ELNS1_3repE0EEENS1_30default_config_static_selectorELNS0_4arch9wavefront6targetE0EEEvSR_
		.amdhsa_group_segment_fixed_size 0
		.amdhsa_private_segment_fixed_size 0
		.amdhsa_kernarg_size 72
		.amdhsa_user_sgpr_count 2
		.amdhsa_user_sgpr_dispatch_ptr 0
		.amdhsa_user_sgpr_queue_ptr 0
		.amdhsa_user_sgpr_kernarg_segment_ptr 1
		.amdhsa_user_sgpr_dispatch_id 0
		.amdhsa_user_sgpr_kernarg_preload_length 0
		.amdhsa_user_sgpr_kernarg_preload_offset 0
		.amdhsa_user_sgpr_private_segment_size 0
		.amdhsa_wavefront_size32 1
		.amdhsa_uses_dynamic_stack 0
		.amdhsa_enable_private_segment 0
		.amdhsa_system_sgpr_workgroup_id_x 1
		.amdhsa_system_sgpr_workgroup_id_y 0
		.amdhsa_system_sgpr_workgroup_id_z 0
		.amdhsa_system_sgpr_workgroup_info 0
		.amdhsa_system_vgpr_workitem_id 0
		.amdhsa_next_free_vgpr 1
		.amdhsa_next_free_sgpr 1
		.amdhsa_named_barrier_count 0
		.amdhsa_reserve_vcc 0
		.amdhsa_float_round_mode_32 0
		.amdhsa_float_round_mode_16_64 0
		.amdhsa_float_denorm_mode_32 3
		.amdhsa_float_denorm_mode_16_64 3
		.amdhsa_fp16_overflow 0
		.amdhsa_memory_ordered 1
		.amdhsa_forward_progress 1
		.amdhsa_inst_pref_size 0
		.amdhsa_round_robin_scheduling 0
		.amdhsa_exception_fp_ieee_invalid_op 0
		.amdhsa_exception_fp_denorm_src 0
		.amdhsa_exception_fp_ieee_div_zero 0
		.amdhsa_exception_fp_ieee_overflow 0
		.amdhsa_exception_fp_ieee_underflow 0
		.amdhsa_exception_fp_ieee_inexact 0
		.amdhsa_exception_int_div_zero 0
	.end_amdhsa_kernel
	.section	.text._ZN7rocprim17ROCPRIM_400000_NS6detail17trampoline_kernelINS0_14default_configENS1_22reduce_config_selectorI11minmax_pairIiEEEZNS1_11reduce_implILb1ES3_N6thrust23THRUST_200600_302600_NS11hip_rocprim26transform_input_iterator_tIS6_NSA_6detail15normal_iteratorINSA_10device_ptrIiEEEE15minmax_unary_opIiEEEPS6_S6_16minmax_binary_opIiEEE10hipError_tPvRmT1_T2_T3_mT4_P12ihipStream_tbEUlT_E0_NS1_11comp_targetILNS1_3genE4ELNS1_11target_archE910ELNS1_3gpuE8ELNS1_3repE0EEENS1_30default_config_static_selectorELNS0_4arch9wavefront6targetE0EEEvSR_,"axG",@progbits,_ZN7rocprim17ROCPRIM_400000_NS6detail17trampoline_kernelINS0_14default_configENS1_22reduce_config_selectorI11minmax_pairIiEEEZNS1_11reduce_implILb1ES3_N6thrust23THRUST_200600_302600_NS11hip_rocprim26transform_input_iterator_tIS6_NSA_6detail15normal_iteratorINSA_10device_ptrIiEEEE15minmax_unary_opIiEEEPS6_S6_16minmax_binary_opIiEEE10hipError_tPvRmT1_T2_T3_mT4_P12ihipStream_tbEUlT_E0_NS1_11comp_targetILNS1_3genE4ELNS1_11target_archE910ELNS1_3gpuE8ELNS1_3repE0EEENS1_30default_config_static_selectorELNS0_4arch9wavefront6targetE0EEEvSR_,comdat
.Lfunc_end21:
	.size	_ZN7rocprim17ROCPRIM_400000_NS6detail17trampoline_kernelINS0_14default_configENS1_22reduce_config_selectorI11minmax_pairIiEEEZNS1_11reduce_implILb1ES3_N6thrust23THRUST_200600_302600_NS11hip_rocprim26transform_input_iterator_tIS6_NSA_6detail15normal_iteratorINSA_10device_ptrIiEEEE15minmax_unary_opIiEEEPS6_S6_16minmax_binary_opIiEEE10hipError_tPvRmT1_T2_T3_mT4_P12ihipStream_tbEUlT_E0_NS1_11comp_targetILNS1_3genE4ELNS1_11target_archE910ELNS1_3gpuE8ELNS1_3repE0EEENS1_30default_config_static_selectorELNS0_4arch9wavefront6targetE0EEEvSR_, .Lfunc_end21-_ZN7rocprim17ROCPRIM_400000_NS6detail17trampoline_kernelINS0_14default_configENS1_22reduce_config_selectorI11minmax_pairIiEEEZNS1_11reduce_implILb1ES3_N6thrust23THRUST_200600_302600_NS11hip_rocprim26transform_input_iterator_tIS6_NSA_6detail15normal_iteratorINSA_10device_ptrIiEEEE15minmax_unary_opIiEEEPS6_S6_16minmax_binary_opIiEEE10hipError_tPvRmT1_T2_T3_mT4_P12ihipStream_tbEUlT_E0_NS1_11comp_targetILNS1_3genE4ELNS1_11target_archE910ELNS1_3gpuE8ELNS1_3repE0EEENS1_30default_config_static_selectorELNS0_4arch9wavefront6targetE0EEEvSR_
                                        ; -- End function
	.set _ZN7rocprim17ROCPRIM_400000_NS6detail17trampoline_kernelINS0_14default_configENS1_22reduce_config_selectorI11minmax_pairIiEEEZNS1_11reduce_implILb1ES3_N6thrust23THRUST_200600_302600_NS11hip_rocprim26transform_input_iterator_tIS6_NSA_6detail15normal_iteratorINSA_10device_ptrIiEEEE15minmax_unary_opIiEEEPS6_S6_16minmax_binary_opIiEEE10hipError_tPvRmT1_T2_T3_mT4_P12ihipStream_tbEUlT_E0_NS1_11comp_targetILNS1_3genE4ELNS1_11target_archE910ELNS1_3gpuE8ELNS1_3repE0EEENS1_30default_config_static_selectorELNS0_4arch9wavefront6targetE0EEEvSR_.num_vgpr, 0
	.set _ZN7rocprim17ROCPRIM_400000_NS6detail17trampoline_kernelINS0_14default_configENS1_22reduce_config_selectorI11minmax_pairIiEEEZNS1_11reduce_implILb1ES3_N6thrust23THRUST_200600_302600_NS11hip_rocprim26transform_input_iterator_tIS6_NSA_6detail15normal_iteratorINSA_10device_ptrIiEEEE15minmax_unary_opIiEEEPS6_S6_16minmax_binary_opIiEEE10hipError_tPvRmT1_T2_T3_mT4_P12ihipStream_tbEUlT_E0_NS1_11comp_targetILNS1_3genE4ELNS1_11target_archE910ELNS1_3gpuE8ELNS1_3repE0EEENS1_30default_config_static_selectorELNS0_4arch9wavefront6targetE0EEEvSR_.num_agpr, 0
	.set _ZN7rocprim17ROCPRIM_400000_NS6detail17trampoline_kernelINS0_14default_configENS1_22reduce_config_selectorI11minmax_pairIiEEEZNS1_11reduce_implILb1ES3_N6thrust23THRUST_200600_302600_NS11hip_rocprim26transform_input_iterator_tIS6_NSA_6detail15normal_iteratorINSA_10device_ptrIiEEEE15minmax_unary_opIiEEEPS6_S6_16minmax_binary_opIiEEE10hipError_tPvRmT1_T2_T3_mT4_P12ihipStream_tbEUlT_E0_NS1_11comp_targetILNS1_3genE4ELNS1_11target_archE910ELNS1_3gpuE8ELNS1_3repE0EEENS1_30default_config_static_selectorELNS0_4arch9wavefront6targetE0EEEvSR_.numbered_sgpr, 0
	.set _ZN7rocprim17ROCPRIM_400000_NS6detail17trampoline_kernelINS0_14default_configENS1_22reduce_config_selectorI11minmax_pairIiEEEZNS1_11reduce_implILb1ES3_N6thrust23THRUST_200600_302600_NS11hip_rocprim26transform_input_iterator_tIS6_NSA_6detail15normal_iteratorINSA_10device_ptrIiEEEE15minmax_unary_opIiEEEPS6_S6_16minmax_binary_opIiEEE10hipError_tPvRmT1_T2_T3_mT4_P12ihipStream_tbEUlT_E0_NS1_11comp_targetILNS1_3genE4ELNS1_11target_archE910ELNS1_3gpuE8ELNS1_3repE0EEENS1_30default_config_static_selectorELNS0_4arch9wavefront6targetE0EEEvSR_.num_named_barrier, 0
	.set _ZN7rocprim17ROCPRIM_400000_NS6detail17trampoline_kernelINS0_14default_configENS1_22reduce_config_selectorI11minmax_pairIiEEEZNS1_11reduce_implILb1ES3_N6thrust23THRUST_200600_302600_NS11hip_rocprim26transform_input_iterator_tIS6_NSA_6detail15normal_iteratorINSA_10device_ptrIiEEEE15minmax_unary_opIiEEEPS6_S6_16minmax_binary_opIiEEE10hipError_tPvRmT1_T2_T3_mT4_P12ihipStream_tbEUlT_E0_NS1_11comp_targetILNS1_3genE4ELNS1_11target_archE910ELNS1_3gpuE8ELNS1_3repE0EEENS1_30default_config_static_selectorELNS0_4arch9wavefront6targetE0EEEvSR_.private_seg_size, 0
	.set _ZN7rocprim17ROCPRIM_400000_NS6detail17trampoline_kernelINS0_14default_configENS1_22reduce_config_selectorI11minmax_pairIiEEEZNS1_11reduce_implILb1ES3_N6thrust23THRUST_200600_302600_NS11hip_rocprim26transform_input_iterator_tIS6_NSA_6detail15normal_iteratorINSA_10device_ptrIiEEEE15minmax_unary_opIiEEEPS6_S6_16minmax_binary_opIiEEE10hipError_tPvRmT1_T2_T3_mT4_P12ihipStream_tbEUlT_E0_NS1_11comp_targetILNS1_3genE4ELNS1_11target_archE910ELNS1_3gpuE8ELNS1_3repE0EEENS1_30default_config_static_selectorELNS0_4arch9wavefront6targetE0EEEvSR_.uses_vcc, 0
	.set _ZN7rocprim17ROCPRIM_400000_NS6detail17trampoline_kernelINS0_14default_configENS1_22reduce_config_selectorI11minmax_pairIiEEEZNS1_11reduce_implILb1ES3_N6thrust23THRUST_200600_302600_NS11hip_rocprim26transform_input_iterator_tIS6_NSA_6detail15normal_iteratorINSA_10device_ptrIiEEEE15minmax_unary_opIiEEEPS6_S6_16minmax_binary_opIiEEE10hipError_tPvRmT1_T2_T3_mT4_P12ihipStream_tbEUlT_E0_NS1_11comp_targetILNS1_3genE4ELNS1_11target_archE910ELNS1_3gpuE8ELNS1_3repE0EEENS1_30default_config_static_selectorELNS0_4arch9wavefront6targetE0EEEvSR_.uses_flat_scratch, 0
	.set _ZN7rocprim17ROCPRIM_400000_NS6detail17trampoline_kernelINS0_14default_configENS1_22reduce_config_selectorI11minmax_pairIiEEEZNS1_11reduce_implILb1ES3_N6thrust23THRUST_200600_302600_NS11hip_rocprim26transform_input_iterator_tIS6_NSA_6detail15normal_iteratorINSA_10device_ptrIiEEEE15minmax_unary_opIiEEEPS6_S6_16minmax_binary_opIiEEE10hipError_tPvRmT1_T2_T3_mT4_P12ihipStream_tbEUlT_E0_NS1_11comp_targetILNS1_3genE4ELNS1_11target_archE910ELNS1_3gpuE8ELNS1_3repE0EEENS1_30default_config_static_selectorELNS0_4arch9wavefront6targetE0EEEvSR_.has_dyn_sized_stack, 0
	.set _ZN7rocprim17ROCPRIM_400000_NS6detail17trampoline_kernelINS0_14default_configENS1_22reduce_config_selectorI11minmax_pairIiEEEZNS1_11reduce_implILb1ES3_N6thrust23THRUST_200600_302600_NS11hip_rocprim26transform_input_iterator_tIS6_NSA_6detail15normal_iteratorINSA_10device_ptrIiEEEE15minmax_unary_opIiEEEPS6_S6_16minmax_binary_opIiEEE10hipError_tPvRmT1_T2_T3_mT4_P12ihipStream_tbEUlT_E0_NS1_11comp_targetILNS1_3genE4ELNS1_11target_archE910ELNS1_3gpuE8ELNS1_3repE0EEENS1_30default_config_static_selectorELNS0_4arch9wavefront6targetE0EEEvSR_.has_recursion, 0
	.set _ZN7rocprim17ROCPRIM_400000_NS6detail17trampoline_kernelINS0_14default_configENS1_22reduce_config_selectorI11minmax_pairIiEEEZNS1_11reduce_implILb1ES3_N6thrust23THRUST_200600_302600_NS11hip_rocprim26transform_input_iterator_tIS6_NSA_6detail15normal_iteratorINSA_10device_ptrIiEEEE15minmax_unary_opIiEEEPS6_S6_16minmax_binary_opIiEEE10hipError_tPvRmT1_T2_T3_mT4_P12ihipStream_tbEUlT_E0_NS1_11comp_targetILNS1_3genE4ELNS1_11target_archE910ELNS1_3gpuE8ELNS1_3repE0EEENS1_30default_config_static_selectorELNS0_4arch9wavefront6targetE0EEEvSR_.has_indirect_call, 0
	.section	.AMDGPU.csdata,"",@progbits
; Kernel info:
; codeLenInByte = 0
; TotalNumSgprs: 0
; NumVgprs: 0
; ScratchSize: 0
; MemoryBound: 0
; FloatMode: 240
; IeeeMode: 1
; LDSByteSize: 0 bytes/workgroup (compile time only)
; SGPRBlocks: 0
; VGPRBlocks: 0
; NumSGPRsForWavesPerEU: 1
; NumVGPRsForWavesPerEU: 1
; NamedBarCnt: 0
; Occupancy: 16
; WaveLimiterHint : 0
; COMPUTE_PGM_RSRC2:SCRATCH_EN: 0
; COMPUTE_PGM_RSRC2:USER_SGPR: 2
; COMPUTE_PGM_RSRC2:TRAP_HANDLER: 0
; COMPUTE_PGM_RSRC2:TGID_X_EN: 1
; COMPUTE_PGM_RSRC2:TGID_Y_EN: 0
; COMPUTE_PGM_RSRC2:TGID_Z_EN: 0
; COMPUTE_PGM_RSRC2:TIDIG_COMP_CNT: 0
	.section	.text._ZN7rocprim17ROCPRIM_400000_NS6detail17trampoline_kernelINS0_14default_configENS1_22reduce_config_selectorI11minmax_pairIiEEEZNS1_11reduce_implILb1ES3_N6thrust23THRUST_200600_302600_NS11hip_rocprim26transform_input_iterator_tIS6_NSA_6detail15normal_iteratorINSA_10device_ptrIiEEEE15minmax_unary_opIiEEEPS6_S6_16minmax_binary_opIiEEE10hipError_tPvRmT1_T2_T3_mT4_P12ihipStream_tbEUlT_E0_NS1_11comp_targetILNS1_3genE3ELNS1_11target_archE908ELNS1_3gpuE7ELNS1_3repE0EEENS1_30default_config_static_selectorELNS0_4arch9wavefront6targetE0EEEvSR_,"axG",@progbits,_ZN7rocprim17ROCPRIM_400000_NS6detail17trampoline_kernelINS0_14default_configENS1_22reduce_config_selectorI11minmax_pairIiEEEZNS1_11reduce_implILb1ES3_N6thrust23THRUST_200600_302600_NS11hip_rocprim26transform_input_iterator_tIS6_NSA_6detail15normal_iteratorINSA_10device_ptrIiEEEE15minmax_unary_opIiEEEPS6_S6_16minmax_binary_opIiEEE10hipError_tPvRmT1_T2_T3_mT4_P12ihipStream_tbEUlT_E0_NS1_11comp_targetILNS1_3genE3ELNS1_11target_archE908ELNS1_3gpuE7ELNS1_3repE0EEENS1_30default_config_static_selectorELNS0_4arch9wavefront6targetE0EEEvSR_,comdat
	.protected	_ZN7rocprim17ROCPRIM_400000_NS6detail17trampoline_kernelINS0_14default_configENS1_22reduce_config_selectorI11minmax_pairIiEEEZNS1_11reduce_implILb1ES3_N6thrust23THRUST_200600_302600_NS11hip_rocprim26transform_input_iterator_tIS6_NSA_6detail15normal_iteratorINSA_10device_ptrIiEEEE15minmax_unary_opIiEEEPS6_S6_16minmax_binary_opIiEEE10hipError_tPvRmT1_T2_T3_mT4_P12ihipStream_tbEUlT_E0_NS1_11comp_targetILNS1_3genE3ELNS1_11target_archE908ELNS1_3gpuE7ELNS1_3repE0EEENS1_30default_config_static_selectorELNS0_4arch9wavefront6targetE0EEEvSR_ ; -- Begin function _ZN7rocprim17ROCPRIM_400000_NS6detail17trampoline_kernelINS0_14default_configENS1_22reduce_config_selectorI11minmax_pairIiEEEZNS1_11reduce_implILb1ES3_N6thrust23THRUST_200600_302600_NS11hip_rocprim26transform_input_iterator_tIS6_NSA_6detail15normal_iteratorINSA_10device_ptrIiEEEE15minmax_unary_opIiEEEPS6_S6_16minmax_binary_opIiEEE10hipError_tPvRmT1_T2_T3_mT4_P12ihipStream_tbEUlT_E0_NS1_11comp_targetILNS1_3genE3ELNS1_11target_archE908ELNS1_3gpuE7ELNS1_3repE0EEENS1_30default_config_static_selectorELNS0_4arch9wavefront6targetE0EEEvSR_
	.globl	_ZN7rocprim17ROCPRIM_400000_NS6detail17trampoline_kernelINS0_14default_configENS1_22reduce_config_selectorI11minmax_pairIiEEEZNS1_11reduce_implILb1ES3_N6thrust23THRUST_200600_302600_NS11hip_rocprim26transform_input_iterator_tIS6_NSA_6detail15normal_iteratorINSA_10device_ptrIiEEEE15minmax_unary_opIiEEEPS6_S6_16minmax_binary_opIiEEE10hipError_tPvRmT1_T2_T3_mT4_P12ihipStream_tbEUlT_E0_NS1_11comp_targetILNS1_3genE3ELNS1_11target_archE908ELNS1_3gpuE7ELNS1_3repE0EEENS1_30default_config_static_selectorELNS0_4arch9wavefront6targetE0EEEvSR_
	.p2align	8
	.type	_ZN7rocprim17ROCPRIM_400000_NS6detail17trampoline_kernelINS0_14default_configENS1_22reduce_config_selectorI11minmax_pairIiEEEZNS1_11reduce_implILb1ES3_N6thrust23THRUST_200600_302600_NS11hip_rocprim26transform_input_iterator_tIS6_NSA_6detail15normal_iteratorINSA_10device_ptrIiEEEE15minmax_unary_opIiEEEPS6_S6_16minmax_binary_opIiEEE10hipError_tPvRmT1_T2_T3_mT4_P12ihipStream_tbEUlT_E0_NS1_11comp_targetILNS1_3genE3ELNS1_11target_archE908ELNS1_3gpuE7ELNS1_3repE0EEENS1_30default_config_static_selectorELNS0_4arch9wavefront6targetE0EEEvSR_,@function
_ZN7rocprim17ROCPRIM_400000_NS6detail17trampoline_kernelINS0_14default_configENS1_22reduce_config_selectorI11minmax_pairIiEEEZNS1_11reduce_implILb1ES3_N6thrust23THRUST_200600_302600_NS11hip_rocprim26transform_input_iterator_tIS6_NSA_6detail15normal_iteratorINSA_10device_ptrIiEEEE15minmax_unary_opIiEEEPS6_S6_16minmax_binary_opIiEEE10hipError_tPvRmT1_T2_T3_mT4_P12ihipStream_tbEUlT_E0_NS1_11comp_targetILNS1_3genE3ELNS1_11target_archE908ELNS1_3gpuE7ELNS1_3repE0EEENS1_30default_config_static_selectorELNS0_4arch9wavefront6targetE0EEEvSR_: ; @_ZN7rocprim17ROCPRIM_400000_NS6detail17trampoline_kernelINS0_14default_configENS1_22reduce_config_selectorI11minmax_pairIiEEEZNS1_11reduce_implILb1ES3_N6thrust23THRUST_200600_302600_NS11hip_rocprim26transform_input_iterator_tIS6_NSA_6detail15normal_iteratorINSA_10device_ptrIiEEEE15minmax_unary_opIiEEEPS6_S6_16minmax_binary_opIiEEE10hipError_tPvRmT1_T2_T3_mT4_P12ihipStream_tbEUlT_E0_NS1_11comp_targetILNS1_3genE3ELNS1_11target_archE908ELNS1_3gpuE7ELNS1_3repE0EEENS1_30default_config_static_selectorELNS0_4arch9wavefront6targetE0EEEvSR_
; %bb.0:
	.section	.rodata,"a",@progbits
	.p2align	6, 0x0
	.amdhsa_kernel _ZN7rocprim17ROCPRIM_400000_NS6detail17trampoline_kernelINS0_14default_configENS1_22reduce_config_selectorI11minmax_pairIiEEEZNS1_11reduce_implILb1ES3_N6thrust23THRUST_200600_302600_NS11hip_rocprim26transform_input_iterator_tIS6_NSA_6detail15normal_iteratorINSA_10device_ptrIiEEEE15minmax_unary_opIiEEEPS6_S6_16minmax_binary_opIiEEE10hipError_tPvRmT1_T2_T3_mT4_P12ihipStream_tbEUlT_E0_NS1_11comp_targetILNS1_3genE3ELNS1_11target_archE908ELNS1_3gpuE7ELNS1_3repE0EEENS1_30default_config_static_selectorELNS0_4arch9wavefront6targetE0EEEvSR_
		.amdhsa_group_segment_fixed_size 0
		.amdhsa_private_segment_fixed_size 0
		.amdhsa_kernarg_size 72
		.amdhsa_user_sgpr_count 2
		.amdhsa_user_sgpr_dispatch_ptr 0
		.amdhsa_user_sgpr_queue_ptr 0
		.amdhsa_user_sgpr_kernarg_segment_ptr 1
		.amdhsa_user_sgpr_dispatch_id 0
		.amdhsa_user_sgpr_kernarg_preload_length 0
		.amdhsa_user_sgpr_kernarg_preload_offset 0
		.amdhsa_user_sgpr_private_segment_size 0
		.amdhsa_wavefront_size32 1
		.amdhsa_uses_dynamic_stack 0
		.amdhsa_enable_private_segment 0
		.amdhsa_system_sgpr_workgroup_id_x 1
		.amdhsa_system_sgpr_workgroup_id_y 0
		.amdhsa_system_sgpr_workgroup_id_z 0
		.amdhsa_system_sgpr_workgroup_info 0
		.amdhsa_system_vgpr_workitem_id 0
		.amdhsa_next_free_vgpr 1
		.amdhsa_next_free_sgpr 1
		.amdhsa_named_barrier_count 0
		.amdhsa_reserve_vcc 0
		.amdhsa_float_round_mode_32 0
		.amdhsa_float_round_mode_16_64 0
		.amdhsa_float_denorm_mode_32 3
		.amdhsa_float_denorm_mode_16_64 3
		.amdhsa_fp16_overflow 0
		.amdhsa_memory_ordered 1
		.amdhsa_forward_progress 1
		.amdhsa_inst_pref_size 0
		.amdhsa_round_robin_scheduling 0
		.amdhsa_exception_fp_ieee_invalid_op 0
		.amdhsa_exception_fp_denorm_src 0
		.amdhsa_exception_fp_ieee_div_zero 0
		.amdhsa_exception_fp_ieee_overflow 0
		.amdhsa_exception_fp_ieee_underflow 0
		.amdhsa_exception_fp_ieee_inexact 0
		.amdhsa_exception_int_div_zero 0
	.end_amdhsa_kernel
	.section	.text._ZN7rocprim17ROCPRIM_400000_NS6detail17trampoline_kernelINS0_14default_configENS1_22reduce_config_selectorI11minmax_pairIiEEEZNS1_11reduce_implILb1ES3_N6thrust23THRUST_200600_302600_NS11hip_rocprim26transform_input_iterator_tIS6_NSA_6detail15normal_iteratorINSA_10device_ptrIiEEEE15minmax_unary_opIiEEEPS6_S6_16minmax_binary_opIiEEE10hipError_tPvRmT1_T2_T3_mT4_P12ihipStream_tbEUlT_E0_NS1_11comp_targetILNS1_3genE3ELNS1_11target_archE908ELNS1_3gpuE7ELNS1_3repE0EEENS1_30default_config_static_selectorELNS0_4arch9wavefront6targetE0EEEvSR_,"axG",@progbits,_ZN7rocprim17ROCPRIM_400000_NS6detail17trampoline_kernelINS0_14default_configENS1_22reduce_config_selectorI11minmax_pairIiEEEZNS1_11reduce_implILb1ES3_N6thrust23THRUST_200600_302600_NS11hip_rocprim26transform_input_iterator_tIS6_NSA_6detail15normal_iteratorINSA_10device_ptrIiEEEE15minmax_unary_opIiEEEPS6_S6_16minmax_binary_opIiEEE10hipError_tPvRmT1_T2_T3_mT4_P12ihipStream_tbEUlT_E0_NS1_11comp_targetILNS1_3genE3ELNS1_11target_archE908ELNS1_3gpuE7ELNS1_3repE0EEENS1_30default_config_static_selectorELNS0_4arch9wavefront6targetE0EEEvSR_,comdat
.Lfunc_end22:
	.size	_ZN7rocprim17ROCPRIM_400000_NS6detail17trampoline_kernelINS0_14default_configENS1_22reduce_config_selectorI11minmax_pairIiEEEZNS1_11reduce_implILb1ES3_N6thrust23THRUST_200600_302600_NS11hip_rocprim26transform_input_iterator_tIS6_NSA_6detail15normal_iteratorINSA_10device_ptrIiEEEE15minmax_unary_opIiEEEPS6_S6_16minmax_binary_opIiEEE10hipError_tPvRmT1_T2_T3_mT4_P12ihipStream_tbEUlT_E0_NS1_11comp_targetILNS1_3genE3ELNS1_11target_archE908ELNS1_3gpuE7ELNS1_3repE0EEENS1_30default_config_static_selectorELNS0_4arch9wavefront6targetE0EEEvSR_, .Lfunc_end22-_ZN7rocprim17ROCPRIM_400000_NS6detail17trampoline_kernelINS0_14default_configENS1_22reduce_config_selectorI11minmax_pairIiEEEZNS1_11reduce_implILb1ES3_N6thrust23THRUST_200600_302600_NS11hip_rocprim26transform_input_iterator_tIS6_NSA_6detail15normal_iteratorINSA_10device_ptrIiEEEE15minmax_unary_opIiEEEPS6_S6_16minmax_binary_opIiEEE10hipError_tPvRmT1_T2_T3_mT4_P12ihipStream_tbEUlT_E0_NS1_11comp_targetILNS1_3genE3ELNS1_11target_archE908ELNS1_3gpuE7ELNS1_3repE0EEENS1_30default_config_static_selectorELNS0_4arch9wavefront6targetE0EEEvSR_
                                        ; -- End function
	.set _ZN7rocprim17ROCPRIM_400000_NS6detail17trampoline_kernelINS0_14default_configENS1_22reduce_config_selectorI11minmax_pairIiEEEZNS1_11reduce_implILb1ES3_N6thrust23THRUST_200600_302600_NS11hip_rocprim26transform_input_iterator_tIS6_NSA_6detail15normal_iteratorINSA_10device_ptrIiEEEE15minmax_unary_opIiEEEPS6_S6_16minmax_binary_opIiEEE10hipError_tPvRmT1_T2_T3_mT4_P12ihipStream_tbEUlT_E0_NS1_11comp_targetILNS1_3genE3ELNS1_11target_archE908ELNS1_3gpuE7ELNS1_3repE0EEENS1_30default_config_static_selectorELNS0_4arch9wavefront6targetE0EEEvSR_.num_vgpr, 0
	.set _ZN7rocprim17ROCPRIM_400000_NS6detail17trampoline_kernelINS0_14default_configENS1_22reduce_config_selectorI11minmax_pairIiEEEZNS1_11reduce_implILb1ES3_N6thrust23THRUST_200600_302600_NS11hip_rocprim26transform_input_iterator_tIS6_NSA_6detail15normal_iteratorINSA_10device_ptrIiEEEE15minmax_unary_opIiEEEPS6_S6_16minmax_binary_opIiEEE10hipError_tPvRmT1_T2_T3_mT4_P12ihipStream_tbEUlT_E0_NS1_11comp_targetILNS1_3genE3ELNS1_11target_archE908ELNS1_3gpuE7ELNS1_3repE0EEENS1_30default_config_static_selectorELNS0_4arch9wavefront6targetE0EEEvSR_.num_agpr, 0
	.set _ZN7rocprim17ROCPRIM_400000_NS6detail17trampoline_kernelINS0_14default_configENS1_22reduce_config_selectorI11minmax_pairIiEEEZNS1_11reduce_implILb1ES3_N6thrust23THRUST_200600_302600_NS11hip_rocprim26transform_input_iterator_tIS6_NSA_6detail15normal_iteratorINSA_10device_ptrIiEEEE15minmax_unary_opIiEEEPS6_S6_16minmax_binary_opIiEEE10hipError_tPvRmT1_T2_T3_mT4_P12ihipStream_tbEUlT_E0_NS1_11comp_targetILNS1_3genE3ELNS1_11target_archE908ELNS1_3gpuE7ELNS1_3repE0EEENS1_30default_config_static_selectorELNS0_4arch9wavefront6targetE0EEEvSR_.numbered_sgpr, 0
	.set _ZN7rocprim17ROCPRIM_400000_NS6detail17trampoline_kernelINS0_14default_configENS1_22reduce_config_selectorI11minmax_pairIiEEEZNS1_11reduce_implILb1ES3_N6thrust23THRUST_200600_302600_NS11hip_rocprim26transform_input_iterator_tIS6_NSA_6detail15normal_iteratorINSA_10device_ptrIiEEEE15minmax_unary_opIiEEEPS6_S6_16minmax_binary_opIiEEE10hipError_tPvRmT1_T2_T3_mT4_P12ihipStream_tbEUlT_E0_NS1_11comp_targetILNS1_3genE3ELNS1_11target_archE908ELNS1_3gpuE7ELNS1_3repE0EEENS1_30default_config_static_selectorELNS0_4arch9wavefront6targetE0EEEvSR_.num_named_barrier, 0
	.set _ZN7rocprim17ROCPRIM_400000_NS6detail17trampoline_kernelINS0_14default_configENS1_22reduce_config_selectorI11minmax_pairIiEEEZNS1_11reduce_implILb1ES3_N6thrust23THRUST_200600_302600_NS11hip_rocprim26transform_input_iterator_tIS6_NSA_6detail15normal_iteratorINSA_10device_ptrIiEEEE15minmax_unary_opIiEEEPS6_S6_16minmax_binary_opIiEEE10hipError_tPvRmT1_T2_T3_mT4_P12ihipStream_tbEUlT_E0_NS1_11comp_targetILNS1_3genE3ELNS1_11target_archE908ELNS1_3gpuE7ELNS1_3repE0EEENS1_30default_config_static_selectorELNS0_4arch9wavefront6targetE0EEEvSR_.private_seg_size, 0
	.set _ZN7rocprim17ROCPRIM_400000_NS6detail17trampoline_kernelINS0_14default_configENS1_22reduce_config_selectorI11minmax_pairIiEEEZNS1_11reduce_implILb1ES3_N6thrust23THRUST_200600_302600_NS11hip_rocprim26transform_input_iterator_tIS6_NSA_6detail15normal_iteratorINSA_10device_ptrIiEEEE15minmax_unary_opIiEEEPS6_S6_16minmax_binary_opIiEEE10hipError_tPvRmT1_T2_T3_mT4_P12ihipStream_tbEUlT_E0_NS1_11comp_targetILNS1_3genE3ELNS1_11target_archE908ELNS1_3gpuE7ELNS1_3repE0EEENS1_30default_config_static_selectorELNS0_4arch9wavefront6targetE0EEEvSR_.uses_vcc, 0
	.set _ZN7rocprim17ROCPRIM_400000_NS6detail17trampoline_kernelINS0_14default_configENS1_22reduce_config_selectorI11minmax_pairIiEEEZNS1_11reduce_implILb1ES3_N6thrust23THRUST_200600_302600_NS11hip_rocprim26transform_input_iterator_tIS6_NSA_6detail15normal_iteratorINSA_10device_ptrIiEEEE15minmax_unary_opIiEEEPS6_S6_16minmax_binary_opIiEEE10hipError_tPvRmT1_T2_T3_mT4_P12ihipStream_tbEUlT_E0_NS1_11comp_targetILNS1_3genE3ELNS1_11target_archE908ELNS1_3gpuE7ELNS1_3repE0EEENS1_30default_config_static_selectorELNS0_4arch9wavefront6targetE0EEEvSR_.uses_flat_scratch, 0
	.set _ZN7rocprim17ROCPRIM_400000_NS6detail17trampoline_kernelINS0_14default_configENS1_22reduce_config_selectorI11minmax_pairIiEEEZNS1_11reduce_implILb1ES3_N6thrust23THRUST_200600_302600_NS11hip_rocprim26transform_input_iterator_tIS6_NSA_6detail15normal_iteratorINSA_10device_ptrIiEEEE15minmax_unary_opIiEEEPS6_S6_16minmax_binary_opIiEEE10hipError_tPvRmT1_T2_T3_mT4_P12ihipStream_tbEUlT_E0_NS1_11comp_targetILNS1_3genE3ELNS1_11target_archE908ELNS1_3gpuE7ELNS1_3repE0EEENS1_30default_config_static_selectorELNS0_4arch9wavefront6targetE0EEEvSR_.has_dyn_sized_stack, 0
	.set _ZN7rocprim17ROCPRIM_400000_NS6detail17trampoline_kernelINS0_14default_configENS1_22reduce_config_selectorI11minmax_pairIiEEEZNS1_11reduce_implILb1ES3_N6thrust23THRUST_200600_302600_NS11hip_rocprim26transform_input_iterator_tIS6_NSA_6detail15normal_iteratorINSA_10device_ptrIiEEEE15minmax_unary_opIiEEEPS6_S6_16minmax_binary_opIiEEE10hipError_tPvRmT1_T2_T3_mT4_P12ihipStream_tbEUlT_E0_NS1_11comp_targetILNS1_3genE3ELNS1_11target_archE908ELNS1_3gpuE7ELNS1_3repE0EEENS1_30default_config_static_selectorELNS0_4arch9wavefront6targetE0EEEvSR_.has_recursion, 0
	.set _ZN7rocprim17ROCPRIM_400000_NS6detail17trampoline_kernelINS0_14default_configENS1_22reduce_config_selectorI11minmax_pairIiEEEZNS1_11reduce_implILb1ES3_N6thrust23THRUST_200600_302600_NS11hip_rocprim26transform_input_iterator_tIS6_NSA_6detail15normal_iteratorINSA_10device_ptrIiEEEE15minmax_unary_opIiEEEPS6_S6_16minmax_binary_opIiEEE10hipError_tPvRmT1_T2_T3_mT4_P12ihipStream_tbEUlT_E0_NS1_11comp_targetILNS1_3genE3ELNS1_11target_archE908ELNS1_3gpuE7ELNS1_3repE0EEENS1_30default_config_static_selectorELNS0_4arch9wavefront6targetE0EEEvSR_.has_indirect_call, 0
	.section	.AMDGPU.csdata,"",@progbits
; Kernel info:
; codeLenInByte = 0
; TotalNumSgprs: 0
; NumVgprs: 0
; ScratchSize: 0
; MemoryBound: 0
; FloatMode: 240
; IeeeMode: 1
; LDSByteSize: 0 bytes/workgroup (compile time only)
; SGPRBlocks: 0
; VGPRBlocks: 0
; NumSGPRsForWavesPerEU: 1
; NumVGPRsForWavesPerEU: 1
; NamedBarCnt: 0
; Occupancy: 16
; WaveLimiterHint : 0
; COMPUTE_PGM_RSRC2:SCRATCH_EN: 0
; COMPUTE_PGM_RSRC2:USER_SGPR: 2
; COMPUTE_PGM_RSRC2:TRAP_HANDLER: 0
; COMPUTE_PGM_RSRC2:TGID_X_EN: 1
; COMPUTE_PGM_RSRC2:TGID_Y_EN: 0
; COMPUTE_PGM_RSRC2:TGID_Z_EN: 0
; COMPUTE_PGM_RSRC2:TIDIG_COMP_CNT: 0
	.section	.text._ZN7rocprim17ROCPRIM_400000_NS6detail17trampoline_kernelINS0_14default_configENS1_22reduce_config_selectorI11minmax_pairIiEEEZNS1_11reduce_implILb1ES3_N6thrust23THRUST_200600_302600_NS11hip_rocprim26transform_input_iterator_tIS6_NSA_6detail15normal_iteratorINSA_10device_ptrIiEEEE15minmax_unary_opIiEEEPS6_S6_16minmax_binary_opIiEEE10hipError_tPvRmT1_T2_T3_mT4_P12ihipStream_tbEUlT_E0_NS1_11comp_targetILNS1_3genE2ELNS1_11target_archE906ELNS1_3gpuE6ELNS1_3repE0EEENS1_30default_config_static_selectorELNS0_4arch9wavefront6targetE0EEEvSR_,"axG",@progbits,_ZN7rocprim17ROCPRIM_400000_NS6detail17trampoline_kernelINS0_14default_configENS1_22reduce_config_selectorI11minmax_pairIiEEEZNS1_11reduce_implILb1ES3_N6thrust23THRUST_200600_302600_NS11hip_rocprim26transform_input_iterator_tIS6_NSA_6detail15normal_iteratorINSA_10device_ptrIiEEEE15minmax_unary_opIiEEEPS6_S6_16minmax_binary_opIiEEE10hipError_tPvRmT1_T2_T3_mT4_P12ihipStream_tbEUlT_E0_NS1_11comp_targetILNS1_3genE2ELNS1_11target_archE906ELNS1_3gpuE6ELNS1_3repE0EEENS1_30default_config_static_selectorELNS0_4arch9wavefront6targetE0EEEvSR_,comdat
	.protected	_ZN7rocprim17ROCPRIM_400000_NS6detail17trampoline_kernelINS0_14default_configENS1_22reduce_config_selectorI11minmax_pairIiEEEZNS1_11reduce_implILb1ES3_N6thrust23THRUST_200600_302600_NS11hip_rocprim26transform_input_iterator_tIS6_NSA_6detail15normal_iteratorINSA_10device_ptrIiEEEE15minmax_unary_opIiEEEPS6_S6_16minmax_binary_opIiEEE10hipError_tPvRmT1_T2_T3_mT4_P12ihipStream_tbEUlT_E0_NS1_11comp_targetILNS1_3genE2ELNS1_11target_archE906ELNS1_3gpuE6ELNS1_3repE0EEENS1_30default_config_static_selectorELNS0_4arch9wavefront6targetE0EEEvSR_ ; -- Begin function _ZN7rocprim17ROCPRIM_400000_NS6detail17trampoline_kernelINS0_14default_configENS1_22reduce_config_selectorI11minmax_pairIiEEEZNS1_11reduce_implILb1ES3_N6thrust23THRUST_200600_302600_NS11hip_rocprim26transform_input_iterator_tIS6_NSA_6detail15normal_iteratorINSA_10device_ptrIiEEEE15minmax_unary_opIiEEEPS6_S6_16minmax_binary_opIiEEE10hipError_tPvRmT1_T2_T3_mT4_P12ihipStream_tbEUlT_E0_NS1_11comp_targetILNS1_3genE2ELNS1_11target_archE906ELNS1_3gpuE6ELNS1_3repE0EEENS1_30default_config_static_selectorELNS0_4arch9wavefront6targetE0EEEvSR_
	.globl	_ZN7rocprim17ROCPRIM_400000_NS6detail17trampoline_kernelINS0_14default_configENS1_22reduce_config_selectorI11minmax_pairIiEEEZNS1_11reduce_implILb1ES3_N6thrust23THRUST_200600_302600_NS11hip_rocprim26transform_input_iterator_tIS6_NSA_6detail15normal_iteratorINSA_10device_ptrIiEEEE15minmax_unary_opIiEEEPS6_S6_16minmax_binary_opIiEEE10hipError_tPvRmT1_T2_T3_mT4_P12ihipStream_tbEUlT_E0_NS1_11comp_targetILNS1_3genE2ELNS1_11target_archE906ELNS1_3gpuE6ELNS1_3repE0EEENS1_30default_config_static_selectorELNS0_4arch9wavefront6targetE0EEEvSR_
	.p2align	8
	.type	_ZN7rocprim17ROCPRIM_400000_NS6detail17trampoline_kernelINS0_14default_configENS1_22reduce_config_selectorI11minmax_pairIiEEEZNS1_11reduce_implILb1ES3_N6thrust23THRUST_200600_302600_NS11hip_rocprim26transform_input_iterator_tIS6_NSA_6detail15normal_iteratorINSA_10device_ptrIiEEEE15minmax_unary_opIiEEEPS6_S6_16minmax_binary_opIiEEE10hipError_tPvRmT1_T2_T3_mT4_P12ihipStream_tbEUlT_E0_NS1_11comp_targetILNS1_3genE2ELNS1_11target_archE906ELNS1_3gpuE6ELNS1_3repE0EEENS1_30default_config_static_selectorELNS0_4arch9wavefront6targetE0EEEvSR_,@function
_ZN7rocprim17ROCPRIM_400000_NS6detail17trampoline_kernelINS0_14default_configENS1_22reduce_config_selectorI11minmax_pairIiEEEZNS1_11reduce_implILb1ES3_N6thrust23THRUST_200600_302600_NS11hip_rocprim26transform_input_iterator_tIS6_NSA_6detail15normal_iteratorINSA_10device_ptrIiEEEE15minmax_unary_opIiEEEPS6_S6_16minmax_binary_opIiEEE10hipError_tPvRmT1_T2_T3_mT4_P12ihipStream_tbEUlT_E0_NS1_11comp_targetILNS1_3genE2ELNS1_11target_archE906ELNS1_3gpuE6ELNS1_3repE0EEENS1_30default_config_static_selectorELNS0_4arch9wavefront6targetE0EEEvSR_: ; @_ZN7rocprim17ROCPRIM_400000_NS6detail17trampoline_kernelINS0_14default_configENS1_22reduce_config_selectorI11minmax_pairIiEEEZNS1_11reduce_implILb1ES3_N6thrust23THRUST_200600_302600_NS11hip_rocprim26transform_input_iterator_tIS6_NSA_6detail15normal_iteratorINSA_10device_ptrIiEEEE15minmax_unary_opIiEEEPS6_S6_16minmax_binary_opIiEEE10hipError_tPvRmT1_T2_T3_mT4_P12ihipStream_tbEUlT_E0_NS1_11comp_targetILNS1_3genE2ELNS1_11target_archE906ELNS1_3gpuE6ELNS1_3repE0EEENS1_30default_config_static_selectorELNS0_4arch9wavefront6targetE0EEEvSR_
; %bb.0:
	.section	.rodata,"a",@progbits
	.p2align	6, 0x0
	.amdhsa_kernel _ZN7rocprim17ROCPRIM_400000_NS6detail17trampoline_kernelINS0_14default_configENS1_22reduce_config_selectorI11minmax_pairIiEEEZNS1_11reduce_implILb1ES3_N6thrust23THRUST_200600_302600_NS11hip_rocprim26transform_input_iterator_tIS6_NSA_6detail15normal_iteratorINSA_10device_ptrIiEEEE15minmax_unary_opIiEEEPS6_S6_16minmax_binary_opIiEEE10hipError_tPvRmT1_T2_T3_mT4_P12ihipStream_tbEUlT_E0_NS1_11comp_targetILNS1_3genE2ELNS1_11target_archE906ELNS1_3gpuE6ELNS1_3repE0EEENS1_30default_config_static_selectorELNS0_4arch9wavefront6targetE0EEEvSR_
		.amdhsa_group_segment_fixed_size 0
		.amdhsa_private_segment_fixed_size 0
		.amdhsa_kernarg_size 72
		.amdhsa_user_sgpr_count 2
		.amdhsa_user_sgpr_dispatch_ptr 0
		.amdhsa_user_sgpr_queue_ptr 0
		.amdhsa_user_sgpr_kernarg_segment_ptr 1
		.amdhsa_user_sgpr_dispatch_id 0
		.amdhsa_user_sgpr_kernarg_preload_length 0
		.amdhsa_user_sgpr_kernarg_preload_offset 0
		.amdhsa_user_sgpr_private_segment_size 0
		.amdhsa_wavefront_size32 1
		.amdhsa_uses_dynamic_stack 0
		.amdhsa_enable_private_segment 0
		.amdhsa_system_sgpr_workgroup_id_x 1
		.amdhsa_system_sgpr_workgroup_id_y 0
		.amdhsa_system_sgpr_workgroup_id_z 0
		.amdhsa_system_sgpr_workgroup_info 0
		.amdhsa_system_vgpr_workitem_id 0
		.amdhsa_next_free_vgpr 1
		.amdhsa_next_free_sgpr 1
		.amdhsa_named_barrier_count 0
		.amdhsa_reserve_vcc 0
		.amdhsa_float_round_mode_32 0
		.amdhsa_float_round_mode_16_64 0
		.amdhsa_float_denorm_mode_32 3
		.amdhsa_float_denorm_mode_16_64 3
		.amdhsa_fp16_overflow 0
		.amdhsa_memory_ordered 1
		.amdhsa_forward_progress 1
		.amdhsa_inst_pref_size 0
		.amdhsa_round_robin_scheduling 0
		.amdhsa_exception_fp_ieee_invalid_op 0
		.amdhsa_exception_fp_denorm_src 0
		.amdhsa_exception_fp_ieee_div_zero 0
		.amdhsa_exception_fp_ieee_overflow 0
		.amdhsa_exception_fp_ieee_underflow 0
		.amdhsa_exception_fp_ieee_inexact 0
		.amdhsa_exception_int_div_zero 0
	.end_amdhsa_kernel
	.section	.text._ZN7rocprim17ROCPRIM_400000_NS6detail17trampoline_kernelINS0_14default_configENS1_22reduce_config_selectorI11minmax_pairIiEEEZNS1_11reduce_implILb1ES3_N6thrust23THRUST_200600_302600_NS11hip_rocprim26transform_input_iterator_tIS6_NSA_6detail15normal_iteratorINSA_10device_ptrIiEEEE15minmax_unary_opIiEEEPS6_S6_16minmax_binary_opIiEEE10hipError_tPvRmT1_T2_T3_mT4_P12ihipStream_tbEUlT_E0_NS1_11comp_targetILNS1_3genE2ELNS1_11target_archE906ELNS1_3gpuE6ELNS1_3repE0EEENS1_30default_config_static_selectorELNS0_4arch9wavefront6targetE0EEEvSR_,"axG",@progbits,_ZN7rocprim17ROCPRIM_400000_NS6detail17trampoline_kernelINS0_14default_configENS1_22reduce_config_selectorI11minmax_pairIiEEEZNS1_11reduce_implILb1ES3_N6thrust23THRUST_200600_302600_NS11hip_rocprim26transform_input_iterator_tIS6_NSA_6detail15normal_iteratorINSA_10device_ptrIiEEEE15minmax_unary_opIiEEEPS6_S6_16minmax_binary_opIiEEE10hipError_tPvRmT1_T2_T3_mT4_P12ihipStream_tbEUlT_E0_NS1_11comp_targetILNS1_3genE2ELNS1_11target_archE906ELNS1_3gpuE6ELNS1_3repE0EEENS1_30default_config_static_selectorELNS0_4arch9wavefront6targetE0EEEvSR_,comdat
.Lfunc_end23:
	.size	_ZN7rocprim17ROCPRIM_400000_NS6detail17trampoline_kernelINS0_14default_configENS1_22reduce_config_selectorI11minmax_pairIiEEEZNS1_11reduce_implILb1ES3_N6thrust23THRUST_200600_302600_NS11hip_rocprim26transform_input_iterator_tIS6_NSA_6detail15normal_iteratorINSA_10device_ptrIiEEEE15minmax_unary_opIiEEEPS6_S6_16minmax_binary_opIiEEE10hipError_tPvRmT1_T2_T3_mT4_P12ihipStream_tbEUlT_E0_NS1_11comp_targetILNS1_3genE2ELNS1_11target_archE906ELNS1_3gpuE6ELNS1_3repE0EEENS1_30default_config_static_selectorELNS0_4arch9wavefront6targetE0EEEvSR_, .Lfunc_end23-_ZN7rocprim17ROCPRIM_400000_NS6detail17trampoline_kernelINS0_14default_configENS1_22reduce_config_selectorI11minmax_pairIiEEEZNS1_11reduce_implILb1ES3_N6thrust23THRUST_200600_302600_NS11hip_rocprim26transform_input_iterator_tIS6_NSA_6detail15normal_iteratorINSA_10device_ptrIiEEEE15minmax_unary_opIiEEEPS6_S6_16minmax_binary_opIiEEE10hipError_tPvRmT1_T2_T3_mT4_P12ihipStream_tbEUlT_E0_NS1_11comp_targetILNS1_3genE2ELNS1_11target_archE906ELNS1_3gpuE6ELNS1_3repE0EEENS1_30default_config_static_selectorELNS0_4arch9wavefront6targetE0EEEvSR_
                                        ; -- End function
	.set _ZN7rocprim17ROCPRIM_400000_NS6detail17trampoline_kernelINS0_14default_configENS1_22reduce_config_selectorI11minmax_pairIiEEEZNS1_11reduce_implILb1ES3_N6thrust23THRUST_200600_302600_NS11hip_rocprim26transform_input_iterator_tIS6_NSA_6detail15normal_iteratorINSA_10device_ptrIiEEEE15minmax_unary_opIiEEEPS6_S6_16minmax_binary_opIiEEE10hipError_tPvRmT1_T2_T3_mT4_P12ihipStream_tbEUlT_E0_NS1_11comp_targetILNS1_3genE2ELNS1_11target_archE906ELNS1_3gpuE6ELNS1_3repE0EEENS1_30default_config_static_selectorELNS0_4arch9wavefront6targetE0EEEvSR_.num_vgpr, 0
	.set _ZN7rocprim17ROCPRIM_400000_NS6detail17trampoline_kernelINS0_14default_configENS1_22reduce_config_selectorI11minmax_pairIiEEEZNS1_11reduce_implILb1ES3_N6thrust23THRUST_200600_302600_NS11hip_rocprim26transform_input_iterator_tIS6_NSA_6detail15normal_iteratorINSA_10device_ptrIiEEEE15minmax_unary_opIiEEEPS6_S6_16minmax_binary_opIiEEE10hipError_tPvRmT1_T2_T3_mT4_P12ihipStream_tbEUlT_E0_NS1_11comp_targetILNS1_3genE2ELNS1_11target_archE906ELNS1_3gpuE6ELNS1_3repE0EEENS1_30default_config_static_selectorELNS0_4arch9wavefront6targetE0EEEvSR_.num_agpr, 0
	.set _ZN7rocprim17ROCPRIM_400000_NS6detail17trampoline_kernelINS0_14default_configENS1_22reduce_config_selectorI11minmax_pairIiEEEZNS1_11reduce_implILb1ES3_N6thrust23THRUST_200600_302600_NS11hip_rocprim26transform_input_iterator_tIS6_NSA_6detail15normal_iteratorINSA_10device_ptrIiEEEE15minmax_unary_opIiEEEPS6_S6_16minmax_binary_opIiEEE10hipError_tPvRmT1_T2_T3_mT4_P12ihipStream_tbEUlT_E0_NS1_11comp_targetILNS1_3genE2ELNS1_11target_archE906ELNS1_3gpuE6ELNS1_3repE0EEENS1_30default_config_static_selectorELNS0_4arch9wavefront6targetE0EEEvSR_.numbered_sgpr, 0
	.set _ZN7rocprim17ROCPRIM_400000_NS6detail17trampoline_kernelINS0_14default_configENS1_22reduce_config_selectorI11minmax_pairIiEEEZNS1_11reduce_implILb1ES3_N6thrust23THRUST_200600_302600_NS11hip_rocprim26transform_input_iterator_tIS6_NSA_6detail15normal_iteratorINSA_10device_ptrIiEEEE15minmax_unary_opIiEEEPS6_S6_16minmax_binary_opIiEEE10hipError_tPvRmT1_T2_T3_mT4_P12ihipStream_tbEUlT_E0_NS1_11comp_targetILNS1_3genE2ELNS1_11target_archE906ELNS1_3gpuE6ELNS1_3repE0EEENS1_30default_config_static_selectorELNS0_4arch9wavefront6targetE0EEEvSR_.num_named_barrier, 0
	.set _ZN7rocprim17ROCPRIM_400000_NS6detail17trampoline_kernelINS0_14default_configENS1_22reduce_config_selectorI11minmax_pairIiEEEZNS1_11reduce_implILb1ES3_N6thrust23THRUST_200600_302600_NS11hip_rocprim26transform_input_iterator_tIS6_NSA_6detail15normal_iteratorINSA_10device_ptrIiEEEE15minmax_unary_opIiEEEPS6_S6_16minmax_binary_opIiEEE10hipError_tPvRmT1_T2_T3_mT4_P12ihipStream_tbEUlT_E0_NS1_11comp_targetILNS1_3genE2ELNS1_11target_archE906ELNS1_3gpuE6ELNS1_3repE0EEENS1_30default_config_static_selectorELNS0_4arch9wavefront6targetE0EEEvSR_.private_seg_size, 0
	.set _ZN7rocprim17ROCPRIM_400000_NS6detail17trampoline_kernelINS0_14default_configENS1_22reduce_config_selectorI11minmax_pairIiEEEZNS1_11reduce_implILb1ES3_N6thrust23THRUST_200600_302600_NS11hip_rocprim26transform_input_iterator_tIS6_NSA_6detail15normal_iteratorINSA_10device_ptrIiEEEE15minmax_unary_opIiEEEPS6_S6_16minmax_binary_opIiEEE10hipError_tPvRmT1_T2_T3_mT4_P12ihipStream_tbEUlT_E0_NS1_11comp_targetILNS1_3genE2ELNS1_11target_archE906ELNS1_3gpuE6ELNS1_3repE0EEENS1_30default_config_static_selectorELNS0_4arch9wavefront6targetE0EEEvSR_.uses_vcc, 0
	.set _ZN7rocprim17ROCPRIM_400000_NS6detail17trampoline_kernelINS0_14default_configENS1_22reduce_config_selectorI11minmax_pairIiEEEZNS1_11reduce_implILb1ES3_N6thrust23THRUST_200600_302600_NS11hip_rocprim26transform_input_iterator_tIS6_NSA_6detail15normal_iteratorINSA_10device_ptrIiEEEE15minmax_unary_opIiEEEPS6_S6_16minmax_binary_opIiEEE10hipError_tPvRmT1_T2_T3_mT4_P12ihipStream_tbEUlT_E0_NS1_11comp_targetILNS1_3genE2ELNS1_11target_archE906ELNS1_3gpuE6ELNS1_3repE0EEENS1_30default_config_static_selectorELNS0_4arch9wavefront6targetE0EEEvSR_.uses_flat_scratch, 0
	.set _ZN7rocprim17ROCPRIM_400000_NS6detail17trampoline_kernelINS0_14default_configENS1_22reduce_config_selectorI11minmax_pairIiEEEZNS1_11reduce_implILb1ES3_N6thrust23THRUST_200600_302600_NS11hip_rocprim26transform_input_iterator_tIS6_NSA_6detail15normal_iteratorINSA_10device_ptrIiEEEE15minmax_unary_opIiEEEPS6_S6_16minmax_binary_opIiEEE10hipError_tPvRmT1_T2_T3_mT4_P12ihipStream_tbEUlT_E0_NS1_11comp_targetILNS1_3genE2ELNS1_11target_archE906ELNS1_3gpuE6ELNS1_3repE0EEENS1_30default_config_static_selectorELNS0_4arch9wavefront6targetE0EEEvSR_.has_dyn_sized_stack, 0
	.set _ZN7rocprim17ROCPRIM_400000_NS6detail17trampoline_kernelINS0_14default_configENS1_22reduce_config_selectorI11minmax_pairIiEEEZNS1_11reduce_implILb1ES3_N6thrust23THRUST_200600_302600_NS11hip_rocprim26transform_input_iterator_tIS6_NSA_6detail15normal_iteratorINSA_10device_ptrIiEEEE15minmax_unary_opIiEEEPS6_S6_16minmax_binary_opIiEEE10hipError_tPvRmT1_T2_T3_mT4_P12ihipStream_tbEUlT_E0_NS1_11comp_targetILNS1_3genE2ELNS1_11target_archE906ELNS1_3gpuE6ELNS1_3repE0EEENS1_30default_config_static_selectorELNS0_4arch9wavefront6targetE0EEEvSR_.has_recursion, 0
	.set _ZN7rocprim17ROCPRIM_400000_NS6detail17trampoline_kernelINS0_14default_configENS1_22reduce_config_selectorI11minmax_pairIiEEEZNS1_11reduce_implILb1ES3_N6thrust23THRUST_200600_302600_NS11hip_rocprim26transform_input_iterator_tIS6_NSA_6detail15normal_iteratorINSA_10device_ptrIiEEEE15minmax_unary_opIiEEEPS6_S6_16minmax_binary_opIiEEE10hipError_tPvRmT1_T2_T3_mT4_P12ihipStream_tbEUlT_E0_NS1_11comp_targetILNS1_3genE2ELNS1_11target_archE906ELNS1_3gpuE6ELNS1_3repE0EEENS1_30default_config_static_selectorELNS0_4arch9wavefront6targetE0EEEvSR_.has_indirect_call, 0
	.section	.AMDGPU.csdata,"",@progbits
; Kernel info:
; codeLenInByte = 0
; TotalNumSgprs: 0
; NumVgprs: 0
; ScratchSize: 0
; MemoryBound: 0
; FloatMode: 240
; IeeeMode: 1
; LDSByteSize: 0 bytes/workgroup (compile time only)
; SGPRBlocks: 0
; VGPRBlocks: 0
; NumSGPRsForWavesPerEU: 1
; NumVGPRsForWavesPerEU: 1
; NamedBarCnt: 0
; Occupancy: 16
; WaveLimiterHint : 0
; COMPUTE_PGM_RSRC2:SCRATCH_EN: 0
; COMPUTE_PGM_RSRC2:USER_SGPR: 2
; COMPUTE_PGM_RSRC2:TRAP_HANDLER: 0
; COMPUTE_PGM_RSRC2:TGID_X_EN: 1
; COMPUTE_PGM_RSRC2:TGID_Y_EN: 0
; COMPUTE_PGM_RSRC2:TGID_Z_EN: 0
; COMPUTE_PGM_RSRC2:TIDIG_COMP_CNT: 0
	.section	.text._ZN7rocprim17ROCPRIM_400000_NS6detail17trampoline_kernelINS0_14default_configENS1_22reduce_config_selectorI11minmax_pairIiEEEZNS1_11reduce_implILb1ES3_N6thrust23THRUST_200600_302600_NS11hip_rocprim26transform_input_iterator_tIS6_NSA_6detail15normal_iteratorINSA_10device_ptrIiEEEE15minmax_unary_opIiEEEPS6_S6_16minmax_binary_opIiEEE10hipError_tPvRmT1_T2_T3_mT4_P12ihipStream_tbEUlT_E0_NS1_11comp_targetILNS1_3genE10ELNS1_11target_archE1201ELNS1_3gpuE5ELNS1_3repE0EEENS1_30default_config_static_selectorELNS0_4arch9wavefront6targetE0EEEvSR_,"axG",@progbits,_ZN7rocprim17ROCPRIM_400000_NS6detail17trampoline_kernelINS0_14default_configENS1_22reduce_config_selectorI11minmax_pairIiEEEZNS1_11reduce_implILb1ES3_N6thrust23THRUST_200600_302600_NS11hip_rocprim26transform_input_iterator_tIS6_NSA_6detail15normal_iteratorINSA_10device_ptrIiEEEE15minmax_unary_opIiEEEPS6_S6_16minmax_binary_opIiEEE10hipError_tPvRmT1_T2_T3_mT4_P12ihipStream_tbEUlT_E0_NS1_11comp_targetILNS1_3genE10ELNS1_11target_archE1201ELNS1_3gpuE5ELNS1_3repE0EEENS1_30default_config_static_selectorELNS0_4arch9wavefront6targetE0EEEvSR_,comdat
	.protected	_ZN7rocprim17ROCPRIM_400000_NS6detail17trampoline_kernelINS0_14default_configENS1_22reduce_config_selectorI11minmax_pairIiEEEZNS1_11reduce_implILb1ES3_N6thrust23THRUST_200600_302600_NS11hip_rocprim26transform_input_iterator_tIS6_NSA_6detail15normal_iteratorINSA_10device_ptrIiEEEE15minmax_unary_opIiEEEPS6_S6_16minmax_binary_opIiEEE10hipError_tPvRmT1_T2_T3_mT4_P12ihipStream_tbEUlT_E0_NS1_11comp_targetILNS1_3genE10ELNS1_11target_archE1201ELNS1_3gpuE5ELNS1_3repE0EEENS1_30default_config_static_selectorELNS0_4arch9wavefront6targetE0EEEvSR_ ; -- Begin function _ZN7rocprim17ROCPRIM_400000_NS6detail17trampoline_kernelINS0_14default_configENS1_22reduce_config_selectorI11minmax_pairIiEEEZNS1_11reduce_implILb1ES3_N6thrust23THRUST_200600_302600_NS11hip_rocprim26transform_input_iterator_tIS6_NSA_6detail15normal_iteratorINSA_10device_ptrIiEEEE15minmax_unary_opIiEEEPS6_S6_16minmax_binary_opIiEEE10hipError_tPvRmT1_T2_T3_mT4_P12ihipStream_tbEUlT_E0_NS1_11comp_targetILNS1_3genE10ELNS1_11target_archE1201ELNS1_3gpuE5ELNS1_3repE0EEENS1_30default_config_static_selectorELNS0_4arch9wavefront6targetE0EEEvSR_
	.globl	_ZN7rocprim17ROCPRIM_400000_NS6detail17trampoline_kernelINS0_14default_configENS1_22reduce_config_selectorI11minmax_pairIiEEEZNS1_11reduce_implILb1ES3_N6thrust23THRUST_200600_302600_NS11hip_rocprim26transform_input_iterator_tIS6_NSA_6detail15normal_iteratorINSA_10device_ptrIiEEEE15minmax_unary_opIiEEEPS6_S6_16minmax_binary_opIiEEE10hipError_tPvRmT1_T2_T3_mT4_P12ihipStream_tbEUlT_E0_NS1_11comp_targetILNS1_3genE10ELNS1_11target_archE1201ELNS1_3gpuE5ELNS1_3repE0EEENS1_30default_config_static_selectorELNS0_4arch9wavefront6targetE0EEEvSR_
	.p2align	8
	.type	_ZN7rocprim17ROCPRIM_400000_NS6detail17trampoline_kernelINS0_14default_configENS1_22reduce_config_selectorI11minmax_pairIiEEEZNS1_11reduce_implILb1ES3_N6thrust23THRUST_200600_302600_NS11hip_rocprim26transform_input_iterator_tIS6_NSA_6detail15normal_iteratorINSA_10device_ptrIiEEEE15minmax_unary_opIiEEEPS6_S6_16minmax_binary_opIiEEE10hipError_tPvRmT1_T2_T3_mT4_P12ihipStream_tbEUlT_E0_NS1_11comp_targetILNS1_3genE10ELNS1_11target_archE1201ELNS1_3gpuE5ELNS1_3repE0EEENS1_30default_config_static_selectorELNS0_4arch9wavefront6targetE0EEEvSR_,@function
_ZN7rocprim17ROCPRIM_400000_NS6detail17trampoline_kernelINS0_14default_configENS1_22reduce_config_selectorI11minmax_pairIiEEEZNS1_11reduce_implILb1ES3_N6thrust23THRUST_200600_302600_NS11hip_rocprim26transform_input_iterator_tIS6_NSA_6detail15normal_iteratorINSA_10device_ptrIiEEEE15minmax_unary_opIiEEEPS6_S6_16minmax_binary_opIiEEE10hipError_tPvRmT1_T2_T3_mT4_P12ihipStream_tbEUlT_E0_NS1_11comp_targetILNS1_3genE10ELNS1_11target_archE1201ELNS1_3gpuE5ELNS1_3repE0EEENS1_30default_config_static_selectorELNS0_4arch9wavefront6targetE0EEEvSR_: ; @_ZN7rocprim17ROCPRIM_400000_NS6detail17trampoline_kernelINS0_14default_configENS1_22reduce_config_selectorI11minmax_pairIiEEEZNS1_11reduce_implILb1ES3_N6thrust23THRUST_200600_302600_NS11hip_rocprim26transform_input_iterator_tIS6_NSA_6detail15normal_iteratorINSA_10device_ptrIiEEEE15minmax_unary_opIiEEEPS6_S6_16minmax_binary_opIiEEE10hipError_tPvRmT1_T2_T3_mT4_P12ihipStream_tbEUlT_E0_NS1_11comp_targetILNS1_3genE10ELNS1_11target_archE1201ELNS1_3gpuE5ELNS1_3repE0EEENS1_30default_config_static_selectorELNS0_4arch9wavefront6targetE0EEEvSR_
; %bb.0:
	.section	.rodata,"a",@progbits
	.p2align	6, 0x0
	.amdhsa_kernel _ZN7rocprim17ROCPRIM_400000_NS6detail17trampoline_kernelINS0_14default_configENS1_22reduce_config_selectorI11minmax_pairIiEEEZNS1_11reduce_implILb1ES3_N6thrust23THRUST_200600_302600_NS11hip_rocprim26transform_input_iterator_tIS6_NSA_6detail15normal_iteratorINSA_10device_ptrIiEEEE15minmax_unary_opIiEEEPS6_S6_16minmax_binary_opIiEEE10hipError_tPvRmT1_T2_T3_mT4_P12ihipStream_tbEUlT_E0_NS1_11comp_targetILNS1_3genE10ELNS1_11target_archE1201ELNS1_3gpuE5ELNS1_3repE0EEENS1_30default_config_static_selectorELNS0_4arch9wavefront6targetE0EEEvSR_
		.amdhsa_group_segment_fixed_size 0
		.amdhsa_private_segment_fixed_size 0
		.amdhsa_kernarg_size 72
		.amdhsa_user_sgpr_count 2
		.amdhsa_user_sgpr_dispatch_ptr 0
		.amdhsa_user_sgpr_queue_ptr 0
		.amdhsa_user_sgpr_kernarg_segment_ptr 1
		.amdhsa_user_sgpr_dispatch_id 0
		.amdhsa_user_sgpr_kernarg_preload_length 0
		.amdhsa_user_sgpr_kernarg_preload_offset 0
		.amdhsa_user_sgpr_private_segment_size 0
		.amdhsa_wavefront_size32 1
		.amdhsa_uses_dynamic_stack 0
		.amdhsa_enable_private_segment 0
		.amdhsa_system_sgpr_workgroup_id_x 1
		.amdhsa_system_sgpr_workgroup_id_y 0
		.amdhsa_system_sgpr_workgroup_id_z 0
		.amdhsa_system_sgpr_workgroup_info 0
		.amdhsa_system_vgpr_workitem_id 0
		.amdhsa_next_free_vgpr 1
		.amdhsa_next_free_sgpr 1
		.amdhsa_named_barrier_count 0
		.amdhsa_reserve_vcc 0
		.amdhsa_float_round_mode_32 0
		.amdhsa_float_round_mode_16_64 0
		.amdhsa_float_denorm_mode_32 3
		.amdhsa_float_denorm_mode_16_64 3
		.amdhsa_fp16_overflow 0
		.amdhsa_memory_ordered 1
		.amdhsa_forward_progress 1
		.amdhsa_inst_pref_size 0
		.amdhsa_round_robin_scheduling 0
		.amdhsa_exception_fp_ieee_invalid_op 0
		.amdhsa_exception_fp_denorm_src 0
		.amdhsa_exception_fp_ieee_div_zero 0
		.amdhsa_exception_fp_ieee_overflow 0
		.amdhsa_exception_fp_ieee_underflow 0
		.amdhsa_exception_fp_ieee_inexact 0
		.amdhsa_exception_int_div_zero 0
	.end_amdhsa_kernel
	.section	.text._ZN7rocprim17ROCPRIM_400000_NS6detail17trampoline_kernelINS0_14default_configENS1_22reduce_config_selectorI11minmax_pairIiEEEZNS1_11reduce_implILb1ES3_N6thrust23THRUST_200600_302600_NS11hip_rocprim26transform_input_iterator_tIS6_NSA_6detail15normal_iteratorINSA_10device_ptrIiEEEE15minmax_unary_opIiEEEPS6_S6_16minmax_binary_opIiEEE10hipError_tPvRmT1_T2_T3_mT4_P12ihipStream_tbEUlT_E0_NS1_11comp_targetILNS1_3genE10ELNS1_11target_archE1201ELNS1_3gpuE5ELNS1_3repE0EEENS1_30default_config_static_selectorELNS0_4arch9wavefront6targetE0EEEvSR_,"axG",@progbits,_ZN7rocprim17ROCPRIM_400000_NS6detail17trampoline_kernelINS0_14default_configENS1_22reduce_config_selectorI11minmax_pairIiEEEZNS1_11reduce_implILb1ES3_N6thrust23THRUST_200600_302600_NS11hip_rocprim26transform_input_iterator_tIS6_NSA_6detail15normal_iteratorINSA_10device_ptrIiEEEE15minmax_unary_opIiEEEPS6_S6_16minmax_binary_opIiEEE10hipError_tPvRmT1_T2_T3_mT4_P12ihipStream_tbEUlT_E0_NS1_11comp_targetILNS1_3genE10ELNS1_11target_archE1201ELNS1_3gpuE5ELNS1_3repE0EEENS1_30default_config_static_selectorELNS0_4arch9wavefront6targetE0EEEvSR_,comdat
.Lfunc_end24:
	.size	_ZN7rocprim17ROCPRIM_400000_NS6detail17trampoline_kernelINS0_14default_configENS1_22reduce_config_selectorI11minmax_pairIiEEEZNS1_11reduce_implILb1ES3_N6thrust23THRUST_200600_302600_NS11hip_rocprim26transform_input_iterator_tIS6_NSA_6detail15normal_iteratorINSA_10device_ptrIiEEEE15minmax_unary_opIiEEEPS6_S6_16minmax_binary_opIiEEE10hipError_tPvRmT1_T2_T3_mT4_P12ihipStream_tbEUlT_E0_NS1_11comp_targetILNS1_3genE10ELNS1_11target_archE1201ELNS1_3gpuE5ELNS1_3repE0EEENS1_30default_config_static_selectorELNS0_4arch9wavefront6targetE0EEEvSR_, .Lfunc_end24-_ZN7rocprim17ROCPRIM_400000_NS6detail17trampoline_kernelINS0_14default_configENS1_22reduce_config_selectorI11minmax_pairIiEEEZNS1_11reduce_implILb1ES3_N6thrust23THRUST_200600_302600_NS11hip_rocprim26transform_input_iterator_tIS6_NSA_6detail15normal_iteratorINSA_10device_ptrIiEEEE15minmax_unary_opIiEEEPS6_S6_16minmax_binary_opIiEEE10hipError_tPvRmT1_T2_T3_mT4_P12ihipStream_tbEUlT_E0_NS1_11comp_targetILNS1_3genE10ELNS1_11target_archE1201ELNS1_3gpuE5ELNS1_3repE0EEENS1_30default_config_static_selectorELNS0_4arch9wavefront6targetE0EEEvSR_
                                        ; -- End function
	.set _ZN7rocprim17ROCPRIM_400000_NS6detail17trampoline_kernelINS0_14default_configENS1_22reduce_config_selectorI11minmax_pairIiEEEZNS1_11reduce_implILb1ES3_N6thrust23THRUST_200600_302600_NS11hip_rocprim26transform_input_iterator_tIS6_NSA_6detail15normal_iteratorINSA_10device_ptrIiEEEE15minmax_unary_opIiEEEPS6_S6_16minmax_binary_opIiEEE10hipError_tPvRmT1_T2_T3_mT4_P12ihipStream_tbEUlT_E0_NS1_11comp_targetILNS1_3genE10ELNS1_11target_archE1201ELNS1_3gpuE5ELNS1_3repE0EEENS1_30default_config_static_selectorELNS0_4arch9wavefront6targetE0EEEvSR_.num_vgpr, 0
	.set _ZN7rocprim17ROCPRIM_400000_NS6detail17trampoline_kernelINS0_14default_configENS1_22reduce_config_selectorI11minmax_pairIiEEEZNS1_11reduce_implILb1ES3_N6thrust23THRUST_200600_302600_NS11hip_rocprim26transform_input_iterator_tIS6_NSA_6detail15normal_iteratorINSA_10device_ptrIiEEEE15minmax_unary_opIiEEEPS6_S6_16minmax_binary_opIiEEE10hipError_tPvRmT1_T2_T3_mT4_P12ihipStream_tbEUlT_E0_NS1_11comp_targetILNS1_3genE10ELNS1_11target_archE1201ELNS1_3gpuE5ELNS1_3repE0EEENS1_30default_config_static_selectorELNS0_4arch9wavefront6targetE0EEEvSR_.num_agpr, 0
	.set _ZN7rocprim17ROCPRIM_400000_NS6detail17trampoline_kernelINS0_14default_configENS1_22reduce_config_selectorI11minmax_pairIiEEEZNS1_11reduce_implILb1ES3_N6thrust23THRUST_200600_302600_NS11hip_rocprim26transform_input_iterator_tIS6_NSA_6detail15normal_iteratorINSA_10device_ptrIiEEEE15minmax_unary_opIiEEEPS6_S6_16minmax_binary_opIiEEE10hipError_tPvRmT1_T2_T3_mT4_P12ihipStream_tbEUlT_E0_NS1_11comp_targetILNS1_3genE10ELNS1_11target_archE1201ELNS1_3gpuE5ELNS1_3repE0EEENS1_30default_config_static_selectorELNS0_4arch9wavefront6targetE0EEEvSR_.numbered_sgpr, 0
	.set _ZN7rocprim17ROCPRIM_400000_NS6detail17trampoline_kernelINS0_14default_configENS1_22reduce_config_selectorI11minmax_pairIiEEEZNS1_11reduce_implILb1ES3_N6thrust23THRUST_200600_302600_NS11hip_rocprim26transform_input_iterator_tIS6_NSA_6detail15normal_iteratorINSA_10device_ptrIiEEEE15minmax_unary_opIiEEEPS6_S6_16minmax_binary_opIiEEE10hipError_tPvRmT1_T2_T3_mT4_P12ihipStream_tbEUlT_E0_NS1_11comp_targetILNS1_3genE10ELNS1_11target_archE1201ELNS1_3gpuE5ELNS1_3repE0EEENS1_30default_config_static_selectorELNS0_4arch9wavefront6targetE0EEEvSR_.num_named_barrier, 0
	.set _ZN7rocprim17ROCPRIM_400000_NS6detail17trampoline_kernelINS0_14default_configENS1_22reduce_config_selectorI11minmax_pairIiEEEZNS1_11reduce_implILb1ES3_N6thrust23THRUST_200600_302600_NS11hip_rocprim26transform_input_iterator_tIS6_NSA_6detail15normal_iteratorINSA_10device_ptrIiEEEE15minmax_unary_opIiEEEPS6_S6_16minmax_binary_opIiEEE10hipError_tPvRmT1_T2_T3_mT4_P12ihipStream_tbEUlT_E0_NS1_11comp_targetILNS1_3genE10ELNS1_11target_archE1201ELNS1_3gpuE5ELNS1_3repE0EEENS1_30default_config_static_selectorELNS0_4arch9wavefront6targetE0EEEvSR_.private_seg_size, 0
	.set _ZN7rocprim17ROCPRIM_400000_NS6detail17trampoline_kernelINS0_14default_configENS1_22reduce_config_selectorI11minmax_pairIiEEEZNS1_11reduce_implILb1ES3_N6thrust23THRUST_200600_302600_NS11hip_rocprim26transform_input_iterator_tIS6_NSA_6detail15normal_iteratorINSA_10device_ptrIiEEEE15minmax_unary_opIiEEEPS6_S6_16minmax_binary_opIiEEE10hipError_tPvRmT1_T2_T3_mT4_P12ihipStream_tbEUlT_E0_NS1_11comp_targetILNS1_3genE10ELNS1_11target_archE1201ELNS1_3gpuE5ELNS1_3repE0EEENS1_30default_config_static_selectorELNS0_4arch9wavefront6targetE0EEEvSR_.uses_vcc, 0
	.set _ZN7rocprim17ROCPRIM_400000_NS6detail17trampoline_kernelINS0_14default_configENS1_22reduce_config_selectorI11minmax_pairIiEEEZNS1_11reduce_implILb1ES3_N6thrust23THRUST_200600_302600_NS11hip_rocprim26transform_input_iterator_tIS6_NSA_6detail15normal_iteratorINSA_10device_ptrIiEEEE15minmax_unary_opIiEEEPS6_S6_16minmax_binary_opIiEEE10hipError_tPvRmT1_T2_T3_mT4_P12ihipStream_tbEUlT_E0_NS1_11comp_targetILNS1_3genE10ELNS1_11target_archE1201ELNS1_3gpuE5ELNS1_3repE0EEENS1_30default_config_static_selectorELNS0_4arch9wavefront6targetE0EEEvSR_.uses_flat_scratch, 0
	.set _ZN7rocprim17ROCPRIM_400000_NS6detail17trampoline_kernelINS0_14default_configENS1_22reduce_config_selectorI11minmax_pairIiEEEZNS1_11reduce_implILb1ES3_N6thrust23THRUST_200600_302600_NS11hip_rocprim26transform_input_iterator_tIS6_NSA_6detail15normal_iteratorINSA_10device_ptrIiEEEE15minmax_unary_opIiEEEPS6_S6_16minmax_binary_opIiEEE10hipError_tPvRmT1_T2_T3_mT4_P12ihipStream_tbEUlT_E0_NS1_11comp_targetILNS1_3genE10ELNS1_11target_archE1201ELNS1_3gpuE5ELNS1_3repE0EEENS1_30default_config_static_selectorELNS0_4arch9wavefront6targetE0EEEvSR_.has_dyn_sized_stack, 0
	.set _ZN7rocprim17ROCPRIM_400000_NS6detail17trampoline_kernelINS0_14default_configENS1_22reduce_config_selectorI11minmax_pairIiEEEZNS1_11reduce_implILb1ES3_N6thrust23THRUST_200600_302600_NS11hip_rocprim26transform_input_iterator_tIS6_NSA_6detail15normal_iteratorINSA_10device_ptrIiEEEE15minmax_unary_opIiEEEPS6_S6_16minmax_binary_opIiEEE10hipError_tPvRmT1_T2_T3_mT4_P12ihipStream_tbEUlT_E0_NS1_11comp_targetILNS1_3genE10ELNS1_11target_archE1201ELNS1_3gpuE5ELNS1_3repE0EEENS1_30default_config_static_selectorELNS0_4arch9wavefront6targetE0EEEvSR_.has_recursion, 0
	.set _ZN7rocprim17ROCPRIM_400000_NS6detail17trampoline_kernelINS0_14default_configENS1_22reduce_config_selectorI11minmax_pairIiEEEZNS1_11reduce_implILb1ES3_N6thrust23THRUST_200600_302600_NS11hip_rocprim26transform_input_iterator_tIS6_NSA_6detail15normal_iteratorINSA_10device_ptrIiEEEE15minmax_unary_opIiEEEPS6_S6_16minmax_binary_opIiEEE10hipError_tPvRmT1_T2_T3_mT4_P12ihipStream_tbEUlT_E0_NS1_11comp_targetILNS1_3genE10ELNS1_11target_archE1201ELNS1_3gpuE5ELNS1_3repE0EEENS1_30default_config_static_selectorELNS0_4arch9wavefront6targetE0EEEvSR_.has_indirect_call, 0
	.section	.AMDGPU.csdata,"",@progbits
; Kernel info:
; codeLenInByte = 0
; TotalNumSgprs: 0
; NumVgprs: 0
; ScratchSize: 0
; MemoryBound: 0
; FloatMode: 240
; IeeeMode: 1
; LDSByteSize: 0 bytes/workgroup (compile time only)
; SGPRBlocks: 0
; VGPRBlocks: 0
; NumSGPRsForWavesPerEU: 1
; NumVGPRsForWavesPerEU: 1
; NamedBarCnt: 0
; Occupancy: 16
; WaveLimiterHint : 0
; COMPUTE_PGM_RSRC2:SCRATCH_EN: 0
; COMPUTE_PGM_RSRC2:USER_SGPR: 2
; COMPUTE_PGM_RSRC2:TRAP_HANDLER: 0
; COMPUTE_PGM_RSRC2:TGID_X_EN: 1
; COMPUTE_PGM_RSRC2:TGID_Y_EN: 0
; COMPUTE_PGM_RSRC2:TGID_Z_EN: 0
; COMPUTE_PGM_RSRC2:TIDIG_COMP_CNT: 0
	.section	.text._ZN7rocprim17ROCPRIM_400000_NS6detail17trampoline_kernelINS0_14default_configENS1_22reduce_config_selectorI11minmax_pairIiEEEZNS1_11reduce_implILb1ES3_N6thrust23THRUST_200600_302600_NS11hip_rocprim26transform_input_iterator_tIS6_NSA_6detail15normal_iteratorINSA_10device_ptrIiEEEE15minmax_unary_opIiEEEPS6_S6_16minmax_binary_opIiEEE10hipError_tPvRmT1_T2_T3_mT4_P12ihipStream_tbEUlT_E0_NS1_11comp_targetILNS1_3genE10ELNS1_11target_archE1200ELNS1_3gpuE4ELNS1_3repE0EEENS1_30default_config_static_selectorELNS0_4arch9wavefront6targetE0EEEvSR_,"axG",@progbits,_ZN7rocprim17ROCPRIM_400000_NS6detail17trampoline_kernelINS0_14default_configENS1_22reduce_config_selectorI11minmax_pairIiEEEZNS1_11reduce_implILb1ES3_N6thrust23THRUST_200600_302600_NS11hip_rocprim26transform_input_iterator_tIS6_NSA_6detail15normal_iteratorINSA_10device_ptrIiEEEE15minmax_unary_opIiEEEPS6_S6_16minmax_binary_opIiEEE10hipError_tPvRmT1_T2_T3_mT4_P12ihipStream_tbEUlT_E0_NS1_11comp_targetILNS1_3genE10ELNS1_11target_archE1200ELNS1_3gpuE4ELNS1_3repE0EEENS1_30default_config_static_selectorELNS0_4arch9wavefront6targetE0EEEvSR_,comdat
	.protected	_ZN7rocprim17ROCPRIM_400000_NS6detail17trampoline_kernelINS0_14default_configENS1_22reduce_config_selectorI11minmax_pairIiEEEZNS1_11reduce_implILb1ES3_N6thrust23THRUST_200600_302600_NS11hip_rocprim26transform_input_iterator_tIS6_NSA_6detail15normal_iteratorINSA_10device_ptrIiEEEE15minmax_unary_opIiEEEPS6_S6_16minmax_binary_opIiEEE10hipError_tPvRmT1_T2_T3_mT4_P12ihipStream_tbEUlT_E0_NS1_11comp_targetILNS1_3genE10ELNS1_11target_archE1200ELNS1_3gpuE4ELNS1_3repE0EEENS1_30default_config_static_selectorELNS0_4arch9wavefront6targetE0EEEvSR_ ; -- Begin function _ZN7rocprim17ROCPRIM_400000_NS6detail17trampoline_kernelINS0_14default_configENS1_22reduce_config_selectorI11minmax_pairIiEEEZNS1_11reduce_implILb1ES3_N6thrust23THRUST_200600_302600_NS11hip_rocprim26transform_input_iterator_tIS6_NSA_6detail15normal_iteratorINSA_10device_ptrIiEEEE15minmax_unary_opIiEEEPS6_S6_16minmax_binary_opIiEEE10hipError_tPvRmT1_T2_T3_mT4_P12ihipStream_tbEUlT_E0_NS1_11comp_targetILNS1_3genE10ELNS1_11target_archE1200ELNS1_3gpuE4ELNS1_3repE0EEENS1_30default_config_static_selectorELNS0_4arch9wavefront6targetE0EEEvSR_
	.globl	_ZN7rocprim17ROCPRIM_400000_NS6detail17trampoline_kernelINS0_14default_configENS1_22reduce_config_selectorI11minmax_pairIiEEEZNS1_11reduce_implILb1ES3_N6thrust23THRUST_200600_302600_NS11hip_rocprim26transform_input_iterator_tIS6_NSA_6detail15normal_iteratorINSA_10device_ptrIiEEEE15minmax_unary_opIiEEEPS6_S6_16minmax_binary_opIiEEE10hipError_tPvRmT1_T2_T3_mT4_P12ihipStream_tbEUlT_E0_NS1_11comp_targetILNS1_3genE10ELNS1_11target_archE1200ELNS1_3gpuE4ELNS1_3repE0EEENS1_30default_config_static_selectorELNS0_4arch9wavefront6targetE0EEEvSR_
	.p2align	8
	.type	_ZN7rocprim17ROCPRIM_400000_NS6detail17trampoline_kernelINS0_14default_configENS1_22reduce_config_selectorI11minmax_pairIiEEEZNS1_11reduce_implILb1ES3_N6thrust23THRUST_200600_302600_NS11hip_rocprim26transform_input_iterator_tIS6_NSA_6detail15normal_iteratorINSA_10device_ptrIiEEEE15minmax_unary_opIiEEEPS6_S6_16minmax_binary_opIiEEE10hipError_tPvRmT1_T2_T3_mT4_P12ihipStream_tbEUlT_E0_NS1_11comp_targetILNS1_3genE10ELNS1_11target_archE1200ELNS1_3gpuE4ELNS1_3repE0EEENS1_30default_config_static_selectorELNS0_4arch9wavefront6targetE0EEEvSR_,@function
_ZN7rocprim17ROCPRIM_400000_NS6detail17trampoline_kernelINS0_14default_configENS1_22reduce_config_selectorI11minmax_pairIiEEEZNS1_11reduce_implILb1ES3_N6thrust23THRUST_200600_302600_NS11hip_rocprim26transform_input_iterator_tIS6_NSA_6detail15normal_iteratorINSA_10device_ptrIiEEEE15minmax_unary_opIiEEEPS6_S6_16minmax_binary_opIiEEE10hipError_tPvRmT1_T2_T3_mT4_P12ihipStream_tbEUlT_E0_NS1_11comp_targetILNS1_3genE10ELNS1_11target_archE1200ELNS1_3gpuE4ELNS1_3repE0EEENS1_30default_config_static_selectorELNS0_4arch9wavefront6targetE0EEEvSR_: ; @_ZN7rocprim17ROCPRIM_400000_NS6detail17trampoline_kernelINS0_14default_configENS1_22reduce_config_selectorI11minmax_pairIiEEEZNS1_11reduce_implILb1ES3_N6thrust23THRUST_200600_302600_NS11hip_rocprim26transform_input_iterator_tIS6_NSA_6detail15normal_iteratorINSA_10device_ptrIiEEEE15minmax_unary_opIiEEEPS6_S6_16minmax_binary_opIiEEE10hipError_tPvRmT1_T2_T3_mT4_P12ihipStream_tbEUlT_E0_NS1_11comp_targetILNS1_3genE10ELNS1_11target_archE1200ELNS1_3gpuE4ELNS1_3repE0EEENS1_30default_config_static_selectorELNS0_4arch9wavefront6targetE0EEEvSR_
; %bb.0:
	.section	.rodata,"a",@progbits
	.p2align	6, 0x0
	.amdhsa_kernel _ZN7rocprim17ROCPRIM_400000_NS6detail17trampoline_kernelINS0_14default_configENS1_22reduce_config_selectorI11minmax_pairIiEEEZNS1_11reduce_implILb1ES3_N6thrust23THRUST_200600_302600_NS11hip_rocprim26transform_input_iterator_tIS6_NSA_6detail15normal_iteratorINSA_10device_ptrIiEEEE15minmax_unary_opIiEEEPS6_S6_16minmax_binary_opIiEEE10hipError_tPvRmT1_T2_T3_mT4_P12ihipStream_tbEUlT_E0_NS1_11comp_targetILNS1_3genE10ELNS1_11target_archE1200ELNS1_3gpuE4ELNS1_3repE0EEENS1_30default_config_static_selectorELNS0_4arch9wavefront6targetE0EEEvSR_
		.amdhsa_group_segment_fixed_size 0
		.amdhsa_private_segment_fixed_size 0
		.amdhsa_kernarg_size 72
		.amdhsa_user_sgpr_count 2
		.amdhsa_user_sgpr_dispatch_ptr 0
		.amdhsa_user_sgpr_queue_ptr 0
		.amdhsa_user_sgpr_kernarg_segment_ptr 1
		.amdhsa_user_sgpr_dispatch_id 0
		.amdhsa_user_sgpr_kernarg_preload_length 0
		.amdhsa_user_sgpr_kernarg_preload_offset 0
		.amdhsa_user_sgpr_private_segment_size 0
		.amdhsa_wavefront_size32 1
		.amdhsa_uses_dynamic_stack 0
		.amdhsa_enable_private_segment 0
		.amdhsa_system_sgpr_workgroup_id_x 1
		.amdhsa_system_sgpr_workgroup_id_y 0
		.amdhsa_system_sgpr_workgroup_id_z 0
		.amdhsa_system_sgpr_workgroup_info 0
		.amdhsa_system_vgpr_workitem_id 0
		.amdhsa_next_free_vgpr 1
		.amdhsa_next_free_sgpr 1
		.amdhsa_named_barrier_count 0
		.amdhsa_reserve_vcc 0
		.amdhsa_float_round_mode_32 0
		.amdhsa_float_round_mode_16_64 0
		.amdhsa_float_denorm_mode_32 3
		.amdhsa_float_denorm_mode_16_64 3
		.amdhsa_fp16_overflow 0
		.amdhsa_memory_ordered 1
		.amdhsa_forward_progress 1
		.amdhsa_inst_pref_size 0
		.amdhsa_round_robin_scheduling 0
		.amdhsa_exception_fp_ieee_invalid_op 0
		.amdhsa_exception_fp_denorm_src 0
		.amdhsa_exception_fp_ieee_div_zero 0
		.amdhsa_exception_fp_ieee_overflow 0
		.amdhsa_exception_fp_ieee_underflow 0
		.amdhsa_exception_fp_ieee_inexact 0
		.amdhsa_exception_int_div_zero 0
	.end_amdhsa_kernel
	.section	.text._ZN7rocprim17ROCPRIM_400000_NS6detail17trampoline_kernelINS0_14default_configENS1_22reduce_config_selectorI11minmax_pairIiEEEZNS1_11reduce_implILb1ES3_N6thrust23THRUST_200600_302600_NS11hip_rocprim26transform_input_iterator_tIS6_NSA_6detail15normal_iteratorINSA_10device_ptrIiEEEE15minmax_unary_opIiEEEPS6_S6_16minmax_binary_opIiEEE10hipError_tPvRmT1_T2_T3_mT4_P12ihipStream_tbEUlT_E0_NS1_11comp_targetILNS1_3genE10ELNS1_11target_archE1200ELNS1_3gpuE4ELNS1_3repE0EEENS1_30default_config_static_selectorELNS0_4arch9wavefront6targetE0EEEvSR_,"axG",@progbits,_ZN7rocprim17ROCPRIM_400000_NS6detail17trampoline_kernelINS0_14default_configENS1_22reduce_config_selectorI11minmax_pairIiEEEZNS1_11reduce_implILb1ES3_N6thrust23THRUST_200600_302600_NS11hip_rocprim26transform_input_iterator_tIS6_NSA_6detail15normal_iteratorINSA_10device_ptrIiEEEE15minmax_unary_opIiEEEPS6_S6_16minmax_binary_opIiEEE10hipError_tPvRmT1_T2_T3_mT4_P12ihipStream_tbEUlT_E0_NS1_11comp_targetILNS1_3genE10ELNS1_11target_archE1200ELNS1_3gpuE4ELNS1_3repE0EEENS1_30default_config_static_selectorELNS0_4arch9wavefront6targetE0EEEvSR_,comdat
.Lfunc_end25:
	.size	_ZN7rocprim17ROCPRIM_400000_NS6detail17trampoline_kernelINS0_14default_configENS1_22reduce_config_selectorI11minmax_pairIiEEEZNS1_11reduce_implILb1ES3_N6thrust23THRUST_200600_302600_NS11hip_rocprim26transform_input_iterator_tIS6_NSA_6detail15normal_iteratorINSA_10device_ptrIiEEEE15minmax_unary_opIiEEEPS6_S6_16minmax_binary_opIiEEE10hipError_tPvRmT1_T2_T3_mT4_P12ihipStream_tbEUlT_E0_NS1_11comp_targetILNS1_3genE10ELNS1_11target_archE1200ELNS1_3gpuE4ELNS1_3repE0EEENS1_30default_config_static_selectorELNS0_4arch9wavefront6targetE0EEEvSR_, .Lfunc_end25-_ZN7rocprim17ROCPRIM_400000_NS6detail17trampoline_kernelINS0_14default_configENS1_22reduce_config_selectorI11minmax_pairIiEEEZNS1_11reduce_implILb1ES3_N6thrust23THRUST_200600_302600_NS11hip_rocprim26transform_input_iterator_tIS6_NSA_6detail15normal_iteratorINSA_10device_ptrIiEEEE15minmax_unary_opIiEEEPS6_S6_16minmax_binary_opIiEEE10hipError_tPvRmT1_T2_T3_mT4_P12ihipStream_tbEUlT_E0_NS1_11comp_targetILNS1_3genE10ELNS1_11target_archE1200ELNS1_3gpuE4ELNS1_3repE0EEENS1_30default_config_static_selectorELNS0_4arch9wavefront6targetE0EEEvSR_
                                        ; -- End function
	.set _ZN7rocprim17ROCPRIM_400000_NS6detail17trampoline_kernelINS0_14default_configENS1_22reduce_config_selectorI11minmax_pairIiEEEZNS1_11reduce_implILb1ES3_N6thrust23THRUST_200600_302600_NS11hip_rocprim26transform_input_iterator_tIS6_NSA_6detail15normal_iteratorINSA_10device_ptrIiEEEE15minmax_unary_opIiEEEPS6_S6_16minmax_binary_opIiEEE10hipError_tPvRmT1_T2_T3_mT4_P12ihipStream_tbEUlT_E0_NS1_11comp_targetILNS1_3genE10ELNS1_11target_archE1200ELNS1_3gpuE4ELNS1_3repE0EEENS1_30default_config_static_selectorELNS0_4arch9wavefront6targetE0EEEvSR_.num_vgpr, 0
	.set _ZN7rocprim17ROCPRIM_400000_NS6detail17trampoline_kernelINS0_14default_configENS1_22reduce_config_selectorI11minmax_pairIiEEEZNS1_11reduce_implILb1ES3_N6thrust23THRUST_200600_302600_NS11hip_rocprim26transform_input_iterator_tIS6_NSA_6detail15normal_iteratorINSA_10device_ptrIiEEEE15minmax_unary_opIiEEEPS6_S6_16minmax_binary_opIiEEE10hipError_tPvRmT1_T2_T3_mT4_P12ihipStream_tbEUlT_E0_NS1_11comp_targetILNS1_3genE10ELNS1_11target_archE1200ELNS1_3gpuE4ELNS1_3repE0EEENS1_30default_config_static_selectorELNS0_4arch9wavefront6targetE0EEEvSR_.num_agpr, 0
	.set _ZN7rocprim17ROCPRIM_400000_NS6detail17trampoline_kernelINS0_14default_configENS1_22reduce_config_selectorI11minmax_pairIiEEEZNS1_11reduce_implILb1ES3_N6thrust23THRUST_200600_302600_NS11hip_rocprim26transform_input_iterator_tIS6_NSA_6detail15normal_iteratorINSA_10device_ptrIiEEEE15minmax_unary_opIiEEEPS6_S6_16minmax_binary_opIiEEE10hipError_tPvRmT1_T2_T3_mT4_P12ihipStream_tbEUlT_E0_NS1_11comp_targetILNS1_3genE10ELNS1_11target_archE1200ELNS1_3gpuE4ELNS1_3repE0EEENS1_30default_config_static_selectorELNS0_4arch9wavefront6targetE0EEEvSR_.numbered_sgpr, 0
	.set _ZN7rocprim17ROCPRIM_400000_NS6detail17trampoline_kernelINS0_14default_configENS1_22reduce_config_selectorI11minmax_pairIiEEEZNS1_11reduce_implILb1ES3_N6thrust23THRUST_200600_302600_NS11hip_rocprim26transform_input_iterator_tIS6_NSA_6detail15normal_iteratorINSA_10device_ptrIiEEEE15minmax_unary_opIiEEEPS6_S6_16minmax_binary_opIiEEE10hipError_tPvRmT1_T2_T3_mT4_P12ihipStream_tbEUlT_E0_NS1_11comp_targetILNS1_3genE10ELNS1_11target_archE1200ELNS1_3gpuE4ELNS1_3repE0EEENS1_30default_config_static_selectorELNS0_4arch9wavefront6targetE0EEEvSR_.num_named_barrier, 0
	.set _ZN7rocprim17ROCPRIM_400000_NS6detail17trampoline_kernelINS0_14default_configENS1_22reduce_config_selectorI11minmax_pairIiEEEZNS1_11reduce_implILb1ES3_N6thrust23THRUST_200600_302600_NS11hip_rocprim26transform_input_iterator_tIS6_NSA_6detail15normal_iteratorINSA_10device_ptrIiEEEE15minmax_unary_opIiEEEPS6_S6_16minmax_binary_opIiEEE10hipError_tPvRmT1_T2_T3_mT4_P12ihipStream_tbEUlT_E0_NS1_11comp_targetILNS1_3genE10ELNS1_11target_archE1200ELNS1_3gpuE4ELNS1_3repE0EEENS1_30default_config_static_selectorELNS0_4arch9wavefront6targetE0EEEvSR_.private_seg_size, 0
	.set _ZN7rocprim17ROCPRIM_400000_NS6detail17trampoline_kernelINS0_14default_configENS1_22reduce_config_selectorI11minmax_pairIiEEEZNS1_11reduce_implILb1ES3_N6thrust23THRUST_200600_302600_NS11hip_rocprim26transform_input_iterator_tIS6_NSA_6detail15normal_iteratorINSA_10device_ptrIiEEEE15minmax_unary_opIiEEEPS6_S6_16minmax_binary_opIiEEE10hipError_tPvRmT1_T2_T3_mT4_P12ihipStream_tbEUlT_E0_NS1_11comp_targetILNS1_3genE10ELNS1_11target_archE1200ELNS1_3gpuE4ELNS1_3repE0EEENS1_30default_config_static_selectorELNS0_4arch9wavefront6targetE0EEEvSR_.uses_vcc, 0
	.set _ZN7rocprim17ROCPRIM_400000_NS6detail17trampoline_kernelINS0_14default_configENS1_22reduce_config_selectorI11minmax_pairIiEEEZNS1_11reduce_implILb1ES3_N6thrust23THRUST_200600_302600_NS11hip_rocprim26transform_input_iterator_tIS6_NSA_6detail15normal_iteratorINSA_10device_ptrIiEEEE15minmax_unary_opIiEEEPS6_S6_16minmax_binary_opIiEEE10hipError_tPvRmT1_T2_T3_mT4_P12ihipStream_tbEUlT_E0_NS1_11comp_targetILNS1_3genE10ELNS1_11target_archE1200ELNS1_3gpuE4ELNS1_3repE0EEENS1_30default_config_static_selectorELNS0_4arch9wavefront6targetE0EEEvSR_.uses_flat_scratch, 0
	.set _ZN7rocprim17ROCPRIM_400000_NS6detail17trampoline_kernelINS0_14default_configENS1_22reduce_config_selectorI11minmax_pairIiEEEZNS1_11reduce_implILb1ES3_N6thrust23THRUST_200600_302600_NS11hip_rocprim26transform_input_iterator_tIS6_NSA_6detail15normal_iteratorINSA_10device_ptrIiEEEE15minmax_unary_opIiEEEPS6_S6_16minmax_binary_opIiEEE10hipError_tPvRmT1_T2_T3_mT4_P12ihipStream_tbEUlT_E0_NS1_11comp_targetILNS1_3genE10ELNS1_11target_archE1200ELNS1_3gpuE4ELNS1_3repE0EEENS1_30default_config_static_selectorELNS0_4arch9wavefront6targetE0EEEvSR_.has_dyn_sized_stack, 0
	.set _ZN7rocprim17ROCPRIM_400000_NS6detail17trampoline_kernelINS0_14default_configENS1_22reduce_config_selectorI11minmax_pairIiEEEZNS1_11reduce_implILb1ES3_N6thrust23THRUST_200600_302600_NS11hip_rocprim26transform_input_iterator_tIS6_NSA_6detail15normal_iteratorINSA_10device_ptrIiEEEE15minmax_unary_opIiEEEPS6_S6_16minmax_binary_opIiEEE10hipError_tPvRmT1_T2_T3_mT4_P12ihipStream_tbEUlT_E0_NS1_11comp_targetILNS1_3genE10ELNS1_11target_archE1200ELNS1_3gpuE4ELNS1_3repE0EEENS1_30default_config_static_selectorELNS0_4arch9wavefront6targetE0EEEvSR_.has_recursion, 0
	.set _ZN7rocprim17ROCPRIM_400000_NS6detail17trampoline_kernelINS0_14default_configENS1_22reduce_config_selectorI11minmax_pairIiEEEZNS1_11reduce_implILb1ES3_N6thrust23THRUST_200600_302600_NS11hip_rocprim26transform_input_iterator_tIS6_NSA_6detail15normal_iteratorINSA_10device_ptrIiEEEE15minmax_unary_opIiEEEPS6_S6_16minmax_binary_opIiEEE10hipError_tPvRmT1_T2_T3_mT4_P12ihipStream_tbEUlT_E0_NS1_11comp_targetILNS1_3genE10ELNS1_11target_archE1200ELNS1_3gpuE4ELNS1_3repE0EEENS1_30default_config_static_selectorELNS0_4arch9wavefront6targetE0EEEvSR_.has_indirect_call, 0
	.section	.AMDGPU.csdata,"",@progbits
; Kernel info:
; codeLenInByte = 0
; TotalNumSgprs: 0
; NumVgprs: 0
; ScratchSize: 0
; MemoryBound: 0
; FloatMode: 240
; IeeeMode: 1
; LDSByteSize: 0 bytes/workgroup (compile time only)
; SGPRBlocks: 0
; VGPRBlocks: 0
; NumSGPRsForWavesPerEU: 1
; NumVGPRsForWavesPerEU: 1
; NamedBarCnt: 0
; Occupancy: 16
; WaveLimiterHint : 0
; COMPUTE_PGM_RSRC2:SCRATCH_EN: 0
; COMPUTE_PGM_RSRC2:USER_SGPR: 2
; COMPUTE_PGM_RSRC2:TRAP_HANDLER: 0
; COMPUTE_PGM_RSRC2:TGID_X_EN: 1
; COMPUTE_PGM_RSRC2:TGID_Y_EN: 0
; COMPUTE_PGM_RSRC2:TGID_Z_EN: 0
; COMPUTE_PGM_RSRC2:TIDIG_COMP_CNT: 0
	.section	.text._ZN7rocprim17ROCPRIM_400000_NS6detail17trampoline_kernelINS0_14default_configENS1_22reduce_config_selectorI11minmax_pairIiEEEZNS1_11reduce_implILb1ES3_N6thrust23THRUST_200600_302600_NS11hip_rocprim26transform_input_iterator_tIS6_NSA_6detail15normal_iteratorINSA_10device_ptrIiEEEE15minmax_unary_opIiEEEPS6_S6_16minmax_binary_opIiEEE10hipError_tPvRmT1_T2_T3_mT4_P12ihipStream_tbEUlT_E0_NS1_11comp_targetILNS1_3genE9ELNS1_11target_archE1100ELNS1_3gpuE3ELNS1_3repE0EEENS1_30default_config_static_selectorELNS0_4arch9wavefront6targetE0EEEvSR_,"axG",@progbits,_ZN7rocprim17ROCPRIM_400000_NS6detail17trampoline_kernelINS0_14default_configENS1_22reduce_config_selectorI11minmax_pairIiEEEZNS1_11reduce_implILb1ES3_N6thrust23THRUST_200600_302600_NS11hip_rocprim26transform_input_iterator_tIS6_NSA_6detail15normal_iteratorINSA_10device_ptrIiEEEE15minmax_unary_opIiEEEPS6_S6_16minmax_binary_opIiEEE10hipError_tPvRmT1_T2_T3_mT4_P12ihipStream_tbEUlT_E0_NS1_11comp_targetILNS1_3genE9ELNS1_11target_archE1100ELNS1_3gpuE3ELNS1_3repE0EEENS1_30default_config_static_selectorELNS0_4arch9wavefront6targetE0EEEvSR_,comdat
	.protected	_ZN7rocprim17ROCPRIM_400000_NS6detail17trampoline_kernelINS0_14default_configENS1_22reduce_config_selectorI11minmax_pairIiEEEZNS1_11reduce_implILb1ES3_N6thrust23THRUST_200600_302600_NS11hip_rocprim26transform_input_iterator_tIS6_NSA_6detail15normal_iteratorINSA_10device_ptrIiEEEE15minmax_unary_opIiEEEPS6_S6_16minmax_binary_opIiEEE10hipError_tPvRmT1_T2_T3_mT4_P12ihipStream_tbEUlT_E0_NS1_11comp_targetILNS1_3genE9ELNS1_11target_archE1100ELNS1_3gpuE3ELNS1_3repE0EEENS1_30default_config_static_selectorELNS0_4arch9wavefront6targetE0EEEvSR_ ; -- Begin function _ZN7rocprim17ROCPRIM_400000_NS6detail17trampoline_kernelINS0_14default_configENS1_22reduce_config_selectorI11minmax_pairIiEEEZNS1_11reduce_implILb1ES3_N6thrust23THRUST_200600_302600_NS11hip_rocprim26transform_input_iterator_tIS6_NSA_6detail15normal_iteratorINSA_10device_ptrIiEEEE15minmax_unary_opIiEEEPS6_S6_16minmax_binary_opIiEEE10hipError_tPvRmT1_T2_T3_mT4_P12ihipStream_tbEUlT_E0_NS1_11comp_targetILNS1_3genE9ELNS1_11target_archE1100ELNS1_3gpuE3ELNS1_3repE0EEENS1_30default_config_static_selectorELNS0_4arch9wavefront6targetE0EEEvSR_
	.globl	_ZN7rocprim17ROCPRIM_400000_NS6detail17trampoline_kernelINS0_14default_configENS1_22reduce_config_selectorI11minmax_pairIiEEEZNS1_11reduce_implILb1ES3_N6thrust23THRUST_200600_302600_NS11hip_rocprim26transform_input_iterator_tIS6_NSA_6detail15normal_iteratorINSA_10device_ptrIiEEEE15minmax_unary_opIiEEEPS6_S6_16minmax_binary_opIiEEE10hipError_tPvRmT1_T2_T3_mT4_P12ihipStream_tbEUlT_E0_NS1_11comp_targetILNS1_3genE9ELNS1_11target_archE1100ELNS1_3gpuE3ELNS1_3repE0EEENS1_30default_config_static_selectorELNS0_4arch9wavefront6targetE0EEEvSR_
	.p2align	8
	.type	_ZN7rocprim17ROCPRIM_400000_NS6detail17trampoline_kernelINS0_14default_configENS1_22reduce_config_selectorI11minmax_pairIiEEEZNS1_11reduce_implILb1ES3_N6thrust23THRUST_200600_302600_NS11hip_rocprim26transform_input_iterator_tIS6_NSA_6detail15normal_iteratorINSA_10device_ptrIiEEEE15minmax_unary_opIiEEEPS6_S6_16minmax_binary_opIiEEE10hipError_tPvRmT1_T2_T3_mT4_P12ihipStream_tbEUlT_E0_NS1_11comp_targetILNS1_3genE9ELNS1_11target_archE1100ELNS1_3gpuE3ELNS1_3repE0EEENS1_30default_config_static_selectorELNS0_4arch9wavefront6targetE0EEEvSR_,@function
_ZN7rocprim17ROCPRIM_400000_NS6detail17trampoline_kernelINS0_14default_configENS1_22reduce_config_selectorI11minmax_pairIiEEEZNS1_11reduce_implILb1ES3_N6thrust23THRUST_200600_302600_NS11hip_rocprim26transform_input_iterator_tIS6_NSA_6detail15normal_iteratorINSA_10device_ptrIiEEEE15minmax_unary_opIiEEEPS6_S6_16minmax_binary_opIiEEE10hipError_tPvRmT1_T2_T3_mT4_P12ihipStream_tbEUlT_E0_NS1_11comp_targetILNS1_3genE9ELNS1_11target_archE1100ELNS1_3gpuE3ELNS1_3repE0EEENS1_30default_config_static_selectorELNS0_4arch9wavefront6targetE0EEEvSR_: ; @_ZN7rocprim17ROCPRIM_400000_NS6detail17trampoline_kernelINS0_14default_configENS1_22reduce_config_selectorI11minmax_pairIiEEEZNS1_11reduce_implILb1ES3_N6thrust23THRUST_200600_302600_NS11hip_rocprim26transform_input_iterator_tIS6_NSA_6detail15normal_iteratorINSA_10device_ptrIiEEEE15minmax_unary_opIiEEEPS6_S6_16minmax_binary_opIiEEE10hipError_tPvRmT1_T2_T3_mT4_P12ihipStream_tbEUlT_E0_NS1_11comp_targetILNS1_3genE9ELNS1_11target_archE1100ELNS1_3gpuE3ELNS1_3repE0EEENS1_30default_config_static_selectorELNS0_4arch9wavefront6targetE0EEEvSR_
; %bb.0:
	.section	.rodata,"a",@progbits
	.p2align	6, 0x0
	.amdhsa_kernel _ZN7rocprim17ROCPRIM_400000_NS6detail17trampoline_kernelINS0_14default_configENS1_22reduce_config_selectorI11minmax_pairIiEEEZNS1_11reduce_implILb1ES3_N6thrust23THRUST_200600_302600_NS11hip_rocprim26transform_input_iterator_tIS6_NSA_6detail15normal_iteratorINSA_10device_ptrIiEEEE15minmax_unary_opIiEEEPS6_S6_16minmax_binary_opIiEEE10hipError_tPvRmT1_T2_T3_mT4_P12ihipStream_tbEUlT_E0_NS1_11comp_targetILNS1_3genE9ELNS1_11target_archE1100ELNS1_3gpuE3ELNS1_3repE0EEENS1_30default_config_static_selectorELNS0_4arch9wavefront6targetE0EEEvSR_
		.amdhsa_group_segment_fixed_size 0
		.amdhsa_private_segment_fixed_size 0
		.amdhsa_kernarg_size 72
		.amdhsa_user_sgpr_count 2
		.amdhsa_user_sgpr_dispatch_ptr 0
		.amdhsa_user_sgpr_queue_ptr 0
		.amdhsa_user_sgpr_kernarg_segment_ptr 1
		.amdhsa_user_sgpr_dispatch_id 0
		.amdhsa_user_sgpr_kernarg_preload_length 0
		.amdhsa_user_sgpr_kernarg_preload_offset 0
		.amdhsa_user_sgpr_private_segment_size 0
		.amdhsa_wavefront_size32 1
		.amdhsa_uses_dynamic_stack 0
		.amdhsa_enable_private_segment 0
		.amdhsa_system_sgpr_workgroup_id_x 1
		.amdhsa_system_sgpr_workgroup_id_y 0
		.amdhsa_system_sgpr_workgroup_id_z 0
		.amdhsa_system_sgpr_workgroup_info 0
		.amdhsa_system_vgpr_workitem_id 0
		.amdhsa_next_free_vgpr 1
		.amdhsa_next_free_sgpr 1
		.amdhsa_named_barrier_count 0
		.amdhsa_reserve_vcc 0
		.amdhsa_float_round_mode_32 0
		.amdhsa_float_round_mode_16_64 0
		.amdhsa_float_denorm_mode_32 3
		.amdhsa_float_denorm_mode_16_64 3
		.amdhsa_fp16_overflow 0
		.amdhsa_memory_ordered 1
		.amdhsa_forward_progress 1
		.amdhsa_inst_pref_size 0
		.amdhsa_round_robin_scheduling 0
		.amdhsa_exception_fp_ieee_invalid_op 0
		.amdhsa_exception_fp_denorm_src 0
		.amdhsa_exception_fp_ieee_div_zero 0
		.amdhsa_exception_fp_ieee_overflow 0
		.amdhsa_exception_fp_ieee_underflow 0
		.amdhsa_exception_fp_ieee_inexact 0
		.amdhsa_exception_int_div_zero 0
	.end_amdhsa_kernel
	.section	.text._ZN7rocprim17ROCPRIM_400000_NS6detail17trampoline_kernelINS0_14default_configENS1_22reduce_config_selectorI11minmax_pairIiEEEZNS1_11reduce_implILb1ES3_N6thrust23THRUST_200600_302600_NS11hip_rocprim26transform_input_iterator_tIS6_NSA_6detail15normal_iteratorINSA_10device_ptrIiEEEE15minmax_unary_opIiEEEPS6_S6_16minmax_binary_opIiEEE10hipError_tPvRmT1_T2_T3_mT4_P12ihipStream_tbEUlT_E0_NS1_11comp_targetILNS1_3genE9ELNS1_11target_archE1100ELNS1_3gpuE3ELNS1_3repE0EEENS1_30default_config_static_selectorELNS0_4arch9wavefront6targetE0EEEvSR_,"axG",@progbits,_ZN7rocprim17ROCPRIM_400000_NS6detail17trampoline_kernelINS0_14default_configENS1_22reduce_config_selectorI11minmax_pairIiEEEZNS1_11reduce_implILb1ES3_N6thrust23THRUST_200600_302600_NS11hip_rocprim26transform_input_iterator_tIS6_NSA_6detail15normal_iteratorINSA_10device_ptrIiEEEE15minmax_unary_opIiEEEPS6_S6_16minmax_binary_opIiEEE10hipError_tPvRmT1_T2_T3_mT4_P12ihipStream_tbEUlT_E0_NS1_11comp_targetILNS1_3genE9ELNS1_11target_archE1100ELNS1_3gpuE3ELNS1_3repE0EEENS1_30default_config_static_selectorELNS0_4arch9wavefront6targetE0EEEvSR_,comdat
.Lfunc_end26:
	.size	_ZN7rocprim17ROCPRIM_400000_NS6detail17trampoline_kernelINS0_14default_configENS1_22reduce_config_selectorI11minmax_pairIiEEEZNS1_11reduce_implILb1ES3_N6thrust23THRUST_200600_302600_NS11hip_rocprim26transform_input_iterator_tIS6_NSA_6detail15normal_iteratorINSA_10device_ptrIiEEEE15minmax_unary_opIiEEEPS6_S6_16minmax_binary_opIiEEE10hipError_tPvRmT1_T2_T3_mT4_P12ihipStream_tbEUlT_E0_NS1_11comp_targetILNS1_3genE9ELNS1_11target_archE1100ELNS1_3gpuE3ELNS1_3repE0EEENS1_30default_config_static_selectorELNS0_4arch9wavefront6targetE0EEEvSR_, .Lfunc_end26-_ZN7rocprim17ROCPRIM_400000_NS6detail17trampoline_kernelINS0_14default_configENS1_22reduce_config_selectorI11minmax_pairIiEEEZNS1_11reduce_implILb1ES3_N6thrust23THRUST_200600_302600_NS11hip_rocprim26transform_input_iterator_tIS6_NSA_6detail15normal_iteratorINSA_10device_ptrIiEEEE15minmax_unary_opIiEEEPS6_S6_16minmax_binary_opIiEEE10hipError_tPvRmT1_T2_T3_mT4_P12ihipStream_tbEUlT_E0_NS1_11comp_targetILNS1_3genE9ELNS1_11target_archE1100ELNS1_3gpuE3ELNS1_3repE0EEENS1_30default_config_static_selectorELNS0_4arch9wavefront6targetE0EEEvSR_
                                        ; -- End function
	.set _ZN7rocprim17ROCPRIM_400000_NS6detail17trampoline_kernelINS0_14default_configENS1_22reduce_config_selectorI11minmax_pairIiEEEZNS1_11reduce_implILb1ES3_N6thrust23THRUST_200600_302600_NS11hip_rocprim26transform_input_iterator_tIS6_NSA_6detail15normal_iteratorINSA_10device_ptrIiEEEE15minmax_unary_opIiEEEPS6_S6_16minmax_binary_opIiEEE10hipError_tPvRmT1_T2_T3_mT4_P12ihipStream_tbEUlT_E0_NS1_11comp_targetILNS1_3genE9ELNS1_11target_archE1100ELNS1_3gpuE3ELNS1_3repE0EEENS1_30default_config_static_selectorELNS0_4arch9wavefront6targetE0EEEvSR_.num_vgpr, 0
	.set _ZN7rocprim17ROCPRIM_400000_NS6detail17trampoline_kernelINS0_14default_configENS1_22reduce_config_selectorI11minmax_pairIiEEEZNS1_11reduce_implILb1ES3_N6thrust23THRUST_200600_302600_NS11hip_rocprim26transform_input_iterator_tIS6_NSA_6detail15normal_iteratorINSA_10device_ptrIiEEEE15minmax_unary_opIiEEEPS6_S6_16minmax_binary_opIiEEE10hipError_tPvRmT1_T2_T3_mT4_P12ihipStream_tbEUlT_E0_NS1_11comp_targetILNS1_3genE9ELNS1_11target_archE1100ELNS1_3gpuE3ELNS1_3repE0EEENS1_30default_config_static_selectorELNS0_4arch9wavefront6targetE0EEEvSR_.num_agpr, 0
	.set _ZN7rocprim17ROCPRIM_400000_NS6detail17trampoline_kernelINS0_14default_configENS1_22reduce_config_selectorI11minmax_pairIiEEEZNS1_11reduce_implILb1ES3_N6thrust23THRUST_200600_302600_NS11hip_rocprim26transform_input_iterator_tIS6_NSA_6detail15normal_iteratorINSA_10device_ptrIiEEEE15minmax_unary_opIiEEEPS6_S6_16minmax_binary_opIiEEE10hipError_tPvRmT1_T2_T3_mT4_P12ihipStream_tbEUlT_E0_NS1_11comp_targetILNS1_3genE9ELNS1_11target_archE1100ELNS1_3gpuE3ELNS1_3repE0EEENS1_30default_config_static_selectorELNS0_4arch9wavefront6targetE0EEEvSR_.numbered_sgpr, 0
	.set _ZN7rocprim17ROCPRIM_400000_NS6detail17trampoline_kernelINS0_14default_configENS1_22reduce_config_selectorI11minmax_pairIiEEEZNS1_11reduce_implILb1ES3_N6thrust23THRUST_200600_302600_NS11hip_rocprim26transform_input_iterator_tIS6_NSA_6detail15normal_iteratorINSA_10device_ptrIiEEEE15minmax_unary_opIiEEEPS6_S6_16minmax_binary_opIiEEE10hipError_tPvRmT1_T2_T3_mT4_P12ihipStream_tbEUlT_E0_NS1_11comp_targetILNS1_3genE9ELNS1_11target_archE1100ELNS1_3gpuE3ELNS1_3repE0EEENS1_30default_config_static_selectorELNS0_4arch9wavefront6targetE0EEEvSR_.num_named_barrier, 0
	.set _ZN7rocprim17ROCPRIM_400000_NS6detail17trampoline_kernelINS0_14default_configENS1_22reduce_config_selectorI11minmax_pairIiEEEZNS1_11reduce_implILb1ES3_N6thrust23THRUST_200600_302600_NS11hip_rocprim26transform_input_iterator_tIS6_NSA_6detail15normal_iteratorINSA_10device_ptrIiEEEE15minmax_unary_opIiEEEPS6_S6_16minmax_binary_opIiEEE10hipError_tPvRmT1_T2_T3_mT4_P12ihipStream_tbEUlT_E0_NS1_11comp_targetILNS1_3genE9ELNS1_11target_archE1100ELNS1_3gpuE3ELNS1_3repE0EEENS1_30default_config_static_selectorELNS0_4arch9wavefront6targetE0EEEvSR_.private_seg_size, 0
	.set _ZN7rocprim17ROCPRIM_400000_NS6detail17trampoline_kernelINS0_14default_configENS1_22reduce_config_selectorI11minmax_pairIiEEEZNS1_11reduce_implILb1ES3_N6thrust23THRUST_200600_302600_NS11hip_rocprim26transform_input_iterator_tIS6_NSA_6detail15normal_iteratorINSA_10device_ptrIiEEEE15minmax_unary_opIiEEEPS6_S6_16minmax_binary_opIiEEE10hipError_tPvRmT1_T2_T3_mT4_P12ihipStream_tbEUlT_E0_NS1_11comp_targetILNS1_3genE9ELNS1_11target_archE1100ELNS1_3gpuE3ELNS1_3repE0EEENS1_30default_config_static_selectorELNS0_4arch9wavefront6targetE0EEEvSR_.uses_vcc, 0
	.set _ZN7rocprim17ROCPRIM_400000_NS6detail17trampoline_kernelINS0_14default_configENS1_22reduce_config_selectorI11minmax_pairIiEEEZNS1_11reduce_implILb1ES3_N6thrust23THRUST_200600_302600_NS11hip_rocprim26transform_input_iterator_tIS6_NSA_6detail15normal_iteratorINSA_10device_ptrIiEEEE15minmax_unary_opIiEEEPS6_S6_16minmax_binary_opIiEEE10hipError_tPvRmT1_T2_T3_mT4_P12ihipStream_tbEUlT_E0_NS1_11comp_targetILNS1_3genE9ELNS1_11target_archE1100ELNS1_3gpuE3ELNS1_3repE0EEENS1_30default_config_static_selectorELNS0_4arch9wavefront6targetE0EEEvSR_.uses_flat_scratch, 0
	.set _ZN7rocprim17ROCPRIM_400000_NS6detail17trampoline_kernelINS0_14default_configENS1_22reduce_config_selectorI11minmax_pairIiEEEZNS1_11reduce_implILb1ES3_N6thrust23THRUST_200600_302600_NS11hip_rocprim26transform_input_iterator_tIS6_NSA_6detail15normal_iteratorINSA_10device_ptrIiEEEE15minmax_unary_opIiEEEPS6_S6_16minmax_binary_opIiEEE10hipError_tPvRmT1_T2_T3_mT4_P12ihipStream_tbEUlT_E0_NS1_11comp_targetILNS1_3genE9ELNS1_11target_archE1100ELNS1_3gpuE3ELNS1_3repE0EEENS1_30default_config_static_selectorELNS0_4arch9wavefront6targetE0EEEvSR_.has_dyn_sized_stack, 0
	.set _ZN7rocprim17ROCPRIM_400000_NS6detail17trampoline_kernelINS0_14default_configENS1_22reduce_config_selectorI11minmax_pairIiEEEZNS1_11reduce_implILb1ES3_N6thrust23THRUST_200600_302600_NS11hip_rocprim26transform_input_iterator_tIS6_NSA_6detail15normal_iteratorINSA_10device_ptrIiEEEE15minmax_unary_opIiEEEPS6_S6_16minmax_binary_opIiEEE10hipError_tPvRmT1_T2_T3_mT4_P12ihipStream_tbEUlT_E0_NS1_11comp_targetILNS1_3genE9ELNS1_11target_archE1100ELNS1_3gpuE3ELNS1_3repE0EEENS1_30default_config_static_selectorELNS0_4arch9wavefront6targetE0EEEvSR_.has_recursion, 0
	.set _ZN7rocprim17ROCPRIM_400000_NS6detail17trampoline_kernelINS0_14default_configENS1_22reduce_config_selectorI11minmax_pairIiEEEZNS1_11reduce_implILb1ES3_N6thrust23THRUST_200600_302600_NS11hip_rocprim26transform_input_iterator_tIS6_NSA_6detail15normal_iteratorINSA_10device_ptrIiEEEE15minmax_unary_opIiEEEPS6_S6_16minmax_binary_opIiEEE10hipError_tPvRmT1_T2_T3_mT4_P12ihipStream_tbEUlT_E0_NS1_11comp_targetILNS1_3genE9ELNS1_11target_archE1100ELNS1_3gpuE3ELNS1_3repE0EEENS1_30default_config_static_selectorELNS0_4arch9wavefront6targetE0EEEvSR_.has_indirect_call, 0
	.section	.AMDGPU.csdata,"",@progbits
; Kernel info:
; codeLenInByte = 0
; TotalNumSgprs: 0
; NumVgprs: 0
; ScratchSize: 0
; MemoryBound: 0
; FloatMode: 240
; IeeeMode: 1
; LDSByteSize: 0 bytes/workgroup (compile time only)
; SGPRBlocks: 0
; VGPRBlocks: 0
; NumSGPRsForWavesPerEU: 1
; NumVGPRsForWavesPerEU: 1
; NamedBarCnt: 0
; Occupancy: 16
; WaveLimiterHint : 0
; COMPUTE_PGM_RSRC2:SCRATCH_EN: 0
; COMPUTE_PGM_RSRC2:USER_SGPR: 2
; COMPUTE_PGM_RSRC2:TRAP_HANDLER: 0
; COMPUTE_PGM_RSRC2:TGID_X_EN: 1
; COMPUTE_PGM_RSRC2:TGID_Y_EN: 0
; COMPUTE_PGM_RSRC2:TGID_Z_EN: 0
; COMPUTE_PGM_RSRC2:TIDIG_COMP_CNT: 0
	.section	.text._ZN7rocprim17ROCPRIM_400000_NS6detail17trampoline_kernelINS0_14default_configENS1_22reduce_config_selectorI11minmax_pairIiEEEZNS1_11reduce_implILb1ES3_N6thrust23THRUST_200600_302600_NS11hip_rocprim26transform_input_iterator_tIS6_NSA_6detail15normal_iteratorINSA_10device_ptrIiEEEE15minmax_unary_opIiEEEPS6_S6_16minmax_binary_opIiEEE10hipError_tPvRmT1_T2_T3_mT4_P12ihipStream_tbEUlT_E0_NS1_11comp_targetILNS1_3genE8ELNS1_11target_archE1030ELNS1_3gpuE2ELNS1_3repE0EEENS1_30default_config_static_selectorELNS0_4arch9wavefront6targetE0EEEvSR_,"axG",@progbits,_ZN7rocprim17ROCPRIM_400000_NS6detail17trampoline_kernelINS0_14default_configENS1_22reduce_config_selectorI11minmax_pairIiEEEZNS1_11reduce_implILb1ES3_N6thrust23THRUST_200600_302600_NS11hip_rocprim26transform_input_iterator_tIS6_NSA_6detail15normal_iteratorINSA_10device_ptrIiEEEE15minmax_unary_opIiEEEPS6_S6_16minmax_binary_opIiEEE10hipError_tPvRmT1_T2_T3_mT4_P12ihipStream_tbEUlT_E0_NS1_11comp_targetILNS1_3genE8ELNS1_11target_archE1030ELNS1_3gpuE2ELNS1_3repE0EEENS1_30default_config_static_selectorELNS0_4arch9wavefront6targetE0EEEvSR_,comdat
	.protected	_ZN7rocprim17ROCPRIM_400000_NS6detail17trampoline_kernelINS0_14default_configENS1_22reduce_config_selectorI11minmax_pairIiEEEZNS1_11reduce_implILb1ES3_N6thrust23THRUST_200600_302600_NS11hip_rocprim26transform_input_iterator_tIS6_NSA_6detail15normal_iteratorINSA_10device_ptrIiEEEE15minmax_unary_opIiEEEPS6_S6_16minmax_binary_opIiEEE10hipError_tPvRmT1_T2_T3_mT4_P12ihipStream_tbEUlT_E0_NS1_11comp_targetILNS1_3genE8ELNS1_11target_archE1030ELNS1_3gpuE2ELNS1_3repE0EEENS1_30default_config_static_selectorELNS0_4arch9wavefront6targetE0EEEvSR_ ; -- Begin function _ZN7rocprim17ROCPRIM_400000_NS6detail17trampoline_kernelINS0_14default_configENS1_22reduce_config_selectorI11minmax_pairIiEEEZNS1_11reduce_implILb1ES3_N6thrust23THRUST_200600_302600_NS11hip_rocprim26transform_input_iterator_tIS6_NSA_6detail15normal_iteratorINSA_10device_ptrIiEEEE15minmax_unary_opIiEEEPS6_S6_16minmax_binary_opIiEEE10hipError_tPvRmT1_T2_T3_mT4_P12ihipStream_tbEUlT_E0_NS1_11comp_targetILNS1_3genE8ELNS1_11target_archE1030ELNS1_3gpuE2ELNS1_3repE0EEENS1_30default_config_static_selectorELNS0_4arch9wavefront6targetE0EEEvSR_
	.globl	_ZN7rocprim17ROCPRIM_400000_NS6detail17trampoline_kernelINS0_14default_configENS1_22reduce_config_selectorI11minmax_pairIiEEEZNS1_11reduce_implILb1ES3_N6thrust23THRUST_200600_302600_NS11hip_rocprim26transform_input_iterator_tIS6_NSA_6detail15normal_iteratorINSA_10device_ptrIiEEEE15minmax_unary_opIiEEEPS6_S6_16minmax_binary_opIiEEE10hipError_tPvRmT1_T2_T3_mT4_P12ihipStream_tbEUlT_E0_NS1_11comp_targetILNS1_3genE8ELNS1_11target_archE1030ELNS1_3gpuE2ELNS1_3repE0EEENS1_30default_config_static_selectorELNS0_4arch9wavefront6targetE0EEEvSR_
	.p2align	8
	.type	_ZN7rocprim17ROCPRIM_400000_NS6detail17trampoline_kernelINS0_14default_configENS1_22reduce_config_selectorI11minmax_pairIiEEEZNS1_11reduce_implILb1ES3_N6thrust23THRUST_200600_302600_NS11hip_rocprim26transform_input_iterator_tIS6_NSA_6detail15normal_iteratorINSA_10device_ptrIiEEEE15minmax_unary_opIiEEEPS6_S6_16minmax_binary_opIiEEE10hipError_tPvRmT1_T2_T3_mT4_P12ihipStream_tbEUlT_E0_NS1_11comp_targetILNS1_3genE8ELNS1_11target_archE1030ELNS1_3gpuE2ELNS1_3repE0EEENS1_30default_config_static_selectorELNS0_4arch9wavefront6targetE0EEEvSR_,@function
_ZN7rocprim17ROCPRIM_400000_NS6detail17trampoline_kernelINS0_14default_configENS1_22reduce_config_selectorI11minmax_pairIiEEEZNS1_11reduce_implILb1ES3_N6thrust23THRUST_200600_302600_NS11hip_rocprim26transform_input_iterator_tIS6_NSA_6detail15normal_iteratorINSA_10device_ptrIiEEEE15minmax_unary_opIiEEEPS6_S6_16minmax_binary_opIiEEE10hipError_tPvRmT1_T2_T3_mT4_P12ihipStream_tbEUlT_E0_NS1_11comp_targetILNS1_3genE8ELNS1_11target_archE1030ELNS1_3gpuE2ELNS1_3repE0EEENS1_30default_config_static_selectorELNS0_4arch9wavefront6targetE0EEEvSR_: ; @_ZN7rocprim17ROCPRIM_400000_NS6detail17trampoline_kernelINS0_14default_configENS1_22reduce_config_selectorI11minmax_pairIiEEEZNS1_11reduce_implILb1ES3_N6thrust23THRUST_200600_302600_NS11hip_rocprim26transform_input_iterator_tIS6_NSA_6detail15normal_iteratorINSA_10device_ptrIiEEEE15minmax_unary_opIiEEEPS6_S6_16minmax_binary_opIiEEE10hipError_tPvRmT1_T2_T3_mT4_P12ihipStream_tbEUlT_E0_NS1_11comp_targetILNS1_3genE8ELNS1_11target_archE1030ELNS1_3gpuE2ELNS1_3repE0EEENS1_30default_config_static_selectorELNS0_4arch9wavefront6targetE0EEEvSR_
; %bb.0:
	.section	.rodata,"a",@progbits
	.p2align	6, 0x0
	.amdhsa_kernel _ZN7rocprim17ROCPRIM_400000_NS6detail17trampoline_kernelINS0_14default_configENS1_22reduce_config_selectorI11minmax_pairIiEEEZNS1_11reduce_implILb1ES3_N6thrust23THRUST_200600_302600_NS11hip_rocprim26transform_input_iterator_tIS6_NSA_6detail15normal_iteratorINSA_10device_ptrIiEEEE15minmax_unary_opIiEEEPS6_S6_16minmax_binary_opIiEEE10hipError_tPvRmT1_T2_T3_mT4_P12ihipStream_tbEUlT_E0_NS1_11comp_targetILNS1_3genE8ELNS1_11target_archE1030ELNS1_3gpuE2ELNS1_3repE0EEENS1_30default_config_static_selectorELNS0_4arch9wavefront6targetE0EEEvSR_
		.amdhsa_group_segment_fixed_size 0
		.amdhsa_private_segment_fixed_size 0
		.amdhsa_kernarg_size 72
		.amdhsa_user_sgpr_count 2
		.amdhsa_user_sgpr_dispatch_ptr 0
		.amdhsa_user_sgpr_queue_ptr 0
		.amdhsa_user_sgpr_kernarg_segment_ptr 1
		.amdhsa_user_sgpr_dispatch_id 0
		.amdhsa_user_sgpr_kernarg_preload_length 0
		.amdhsa_user_sgpr_kernarg_preload_offset 0
		.amdhsa_user_sgpr_private_segment_size 0
		.amdhsa_wavefront_size32 1
		.amdhsa_uses_dynamic_stack 0
		.amdhsa_enable_private_segment 0
		.amdhsa_system_sgpr_workgroup_id_x 1
		.amdhsa_system_sgpr_workgroup_id_y 0
		.amdhsa_system_sgpr_workgroup_id_z 0
		.amdhsa_system_sgpr_workgroup_info 0
		.amdhsa_system_vgpr_workitem_id 0
		.amdhsa_next_free_vgpr 1
		.amdhsa_next_free_sgpr 1
		.amdhsa_named_barrier_count 0
		.amdhsa_reserve_vcc 0
		.amdhsa_float_round_mode_32 0
		.amdhsa_float_round_mode_16_64 0
		.amdhsa_float_denorm_mode_32 3
		.amdhsa_float_denorm_mode_16_64 3
		.amdhsa_fp16_overflow 0
		.amdhsa_memory_ordered 1
		.amdhsa_forward_progress 1
		.amdhsa_inst_pref_size 0
		.amdhsa_round_robin_scheduling 0
		.amdhsa_exception_fp_ieee_invalid_op 0
		.amdhsa_exception_fp_denorm_src 0
		.amdhsa_exception_fp_ieee_div_zero 0
		.amdhsa_exception_fp_ieee_overflow 0
		.amdhsa_exception_fp_ieee_underflow 0
		.amdhsa_exception_fp_ieee_inexact 0
		.amdhsa_exception_int_div_zero 0
	.end_amdhsa_kernel
	.section	.text._ZN7rocprim17ROCPRIM_400000_NS6detail17trampoline_kernelINS0_14default_configENS1_22reduce_config_selectorI11minmax_pairIiEEEZNS1_11reduce_implILb1ES3_N6thrust23THRUST_200600_302600_NS11hip_rocprim26transform_input_iterator_tIS6_NSA_6detail15normal_iteratorINSA_10device_ptrIiEEEE15minmax_unary_opIiEEEPS6_S6_16minmax_binary_opIiEEE10hipError_tPvRmT1_T2_T3_mT4_P12ihipStream_tbEUlT_E0_NS1_11comp_targetILNS1_3genE8ELNS1_11target_archE1030ELNS1_3gpuE2ELNS1_3repE0EEENS1_30default_config_static_selectorELNS0_4arch9wavefront6targetE0EEEvSR_,"axG",@progbits,_ZN7rocprim17ROCPRIM_400000_NS6detail17trampoline_kernelINS0_14default_configENS1_22reduce_config_selectorI11minmax_pairIiEEEZNS1_11reduce_implILb1ES3_N6thrust23THRUST_200600_302600_NS11hip_rocprim26transform_input_iterator_tIS6_NSA_6detail15normal_iteratorINSA_10device_ptrIiEEEE15minmax_unary_opIiEEEPS6_S6_16minmax_binary_opIiEEE10hipError_tPvRmT1_T2_T3_mT4_P12ihipStream_tbEUlT_E0_NS1_11comp_targetILNS1_3genE8ELNS1_11target_archE1030ELNS1_3gpuE2ELNS1_3repE0EEENS1_30default_config_static_selectorELNS0_4arch9wavefront6targetE0EEEvSR_,comdat
.Lfunc_end27:
	.size	_ZN7rocprim17ROCPRIM_400000_NS6detail17trampoline_kernelINS0_14default_configENS1_22reduce_config_selectorI11minmax_pairIiEEEZNS1_11reduce_implILb1ES3_N6thrust23THRUST_200600_302600_NS11hip_rocprim26transform_input_iterator_tIS6_NSA_6detail15normal_iteratorINSA_10device_ptrIiEEEE15minmax_unary_opIiEEEPS6_S6_16minmax_binary_opIiEEE10hipError_tPvRmT1_T2_T3_mT4_P12ihipStream_tbEUlT_E0_NS1_11comp_targetILNS1_3genE8ELNS1_11target_archE1030ELNS1_3gpuE2ELNS1_3repE0EEENS1_30default_config_static_selectorELNS0_4arch9wavefront6targetE0EEEvSR_, .Lfunc_end27-_ZN7rocprim17ROCPRIM_400000_NS6detail17trampoline_kernelINS0_14default_configENS1_22reduce_config_selectorI11minmax_pairIiEEEZNS1_11reduce_implILb1ES3_N6thrust23THRUST_200600_302600_NS11hip_rocprim26transform_input_iterator_tIS6_NSA_6detail15normal_iteratorINSA_10device_ptrIiEEEE15minmax_unary_opIiEEEPS6_S6_16minmax_binary_opIiEEE10hipError_tPvRmT1_T2_T3_mT4_P12ihipStream_tbEUlT_E0_NS1_11comp_targetILNS1_3genE8ELNS1_11target_archE1030ELNS1_3gpuE2ELNS1_3repE0EEENS1_30default_config_static_selectorELNS0_4arch9wavefront6targetE0EEEvSR_
                                        ; -- End function
	.set _ZN7rocprim17ROCPRIM_400000_NS6detail17trampoline_kernelINS0_14default_configENS1_22reduce_config_selectorI11minmax_pairIiEEEZNS1_11reduce_implILb1ES3_N6thrust23THRUST_200600_302600_NS11hip_rocprim26transform_input_iterator_tIS6_NSA_6detail15normal_iteratorINSA_10device_ptrIiEEEE15minmax_unary_opIiEEEPS6_S6_16minmax_binary_opIiEEE10hipError_tPvRmT1_T2_T3_mT4_P12ihipStream_tbEUlT_E0_NS1_11comp_targetILNS1_3genE8ELNS1_11target_archE1030ELNS1_3gpuE2ELNS1_3repE0EEENS1_30default_config_static_selectorELNS0_4arch9wavefront6targetE0EEEvSR_.num_vgpr, 0
	.set _ZN7rocprim17ROCPRIM_400000_NS6detail17trampoline_kernelINS0_14default_configENS1_22reduce_config_selectorI11minmax_pairIiEEEZNS1_11reduce_implILb1ES3_N6thrust23THRUST_200600_302600_NS11hip_rocprim26transform_input_iterator_tIS6_NSA_6detail15normal_iteratorINSA_10device_ptrIiEEEE15minmax_unary_opIiEEEPS6_S6_16minmax_binary_opIiEEE10hipError_tPvRmT1_T2_T3_mT4_P12ihipStream_tbEUlT_E0_NS1_11comp_targetILNS1_3genE8ELNS1_11target_archE1030ELNS1_3gpuE2ELNS1_3repE0EEENS1_30default_config_static_selectorELNS0_4arch9wavefront6targetE0EEEvSR_.num_agpr, 0
	.set _ZN7rocprim17ROCPRIM_400000_NS6detail17trampoline_kernelINS0_14default_configENS1_22reduce_config_selectorI11minmax_pairIiEEEZNS1_11reduce_implILb1ES3_N6thrust23THRUST_200600_302600_NS11hip_rocprim26transform_input_iterator_tIS6_NSA_6detail15normal_iteratorINSA_10device_ptrIiEEEE15minmax_unary_opIiEEEPS6_S6_16minmax_binary_opIiEEE10hipError_tPvRmT1_T2_T3_mT4_P12ihipStream_tbEUlT_E0_NS1_11comp_targetILNS1_3genE8ELNS1_11target_archE1030ELNS1_3gpuE2ELNS1_3repE0EEENS1_30default_config_static_selectorELNS0_4arch9wavefront6targetE0EEEvSR_.numbered_sgpr, 0
	.set _ZN7rocprim17ROCPRIM_400000_NS6detail17trampoline_kernelINS0_14default_configENS1_22reduce_config_selectorI11minmax_pairIiEEEZNS1_11reduce_implILb1ES3_N6thrust23THRUST_200600_302600_NS11hip_rocprim26transform_input_iterator_tIS6_NSA_6detail15normal_iteratorINSA_10device_ptrIiEEEE15minmax_unary_opIiEEEPS6_S6_16minmax_binary_opIiEEE10hipError_tPvRmT1_T2_T3_mT4_P12ihipStream_tbEUlT_E0_NS1_11comp_targetILNS1_3genE8ELNS1_11target_archE1030ELNS1_3gpuE2ELNS1_3repE0EEENS1_30default_config_static_selectorELNS0_4arch9wavefront6targetE0EEEvSR_.num_named_barrier, 0
	.set _ZN7rocprim17ROCPRIM_400000_NS6detail17trampoline_kernelINS0_14default_configENS1_22reduce_config_selectorI11minmax_pairIiEEEZNS1_11reduce_implILb1ES3_N6thrust23THRUST_200600_302600_NS11hip_rocprim26transform_input_iterator_tIS6_NSA_6detail15normal_iteratorINSA_10device_ptrIiEEEE15minmax_unary_opIiEEEPS6_S6_16minmax_binary_opIiEEE10hipError_tPvRmT1_T2_T3_mT4_P12ihipStream_tbEUlT_E0_NS1_11comp_targetILNS1_3genE8ELNS1_11target_archE1030ELNS1_3gpuE2ELNS1_3repE0EEENS1_30default_config_static_selectorELNS0_4arch9wavefront6targetE0EEEvSR_.private_seg_size, 0
	.set _ZN7rocprim17ROCPRIM_400000_NS6detail17trampoline_kernelINS0_14default_configENS1_22reduce_config_selectorI11minmax_pairIiEEEZNS1_11reduce_implILb1ES3_N6thrust23THRUST_200600_302600_NS11hip_rocprim26transform_input_iterator_tIS6_NSA_6detail15normal_iteratorINSA_10device_ptrIiEEEE15minmax_unary_opIiEEEPS6_S6_16minmax_binary_opIiEEE10hipError_tPvRmT1_T2_T3_mT4_P12ihipStream_tbEUlT_E0_NS1_11comp_targetILNS1_3genE8ELNS1_11target_archE1030ELNS1_3gpuE2ELNS1_3repE0EEENS1_30default_config_static_selectorELNS0_4arch9wavefront6targetE0EEEvSR_.uses_vcc, 0
	.set _ZN7rocprim17ROCPRIM_400000_NS6detail17trampoline_kernelINS0_14default_configENS1_22reduce_config_selectorI11minmax_pairIiEEEZNS1_11reduce_implILb1ES3_N6thrust23THRUST_200600_302600_NS11hip_rocprim26transform_input_iterator_tIS6_NSA_6detail15normal_iteratorINSA_10device_ptrIiEEEE15minmax_unary_opIiEEEPS6_S6_16minmax_binary_opIiEEE10hipError_tPvRmT1_T2_T3_mT4_P12ihipStream_tbEUlT_E0_NS1_11comp_targetILNS1_3genE8ELNS1_11target_archE1030ELNS1_3gpuE2ELNS1_3repE0EEENS1_30default_config_static_selectorELNS0_4arch9wavefront6targetE0EEEvSR_.uses_flat_scratch, 0
	.set _ZN7rocprim17ROCPRIM_400000_NS6detail17trampoline_kernelINS0_14default_configENS1_22reduce_config_selectorI11minmax_pairIiEEEZNS1_11reduce_implILb1ES3_N6thrust23THRUST_200600_302600_NS11hip_rocprim26transform_input_iterator_tIS6_NSA_6detail15normal_iteratorINSA_10device_ptrIiEEEE15minmax_unary_opIiEEEPS6_S6_16minmax_binary_opIiEEE10hipError_tPvRmT1_T2_T3_mT4_P12ihipStream_tbEUlT_E0_NS1_11comp_targetILNS1_3genE8ELNS1_11target_archE1030ELNS1_3gpuE2ELNS1_3repE0EEENS1_30default_config_static_selectorELNS0_4arch9wavefront6targetE0EEEvSR_.has_dyn_sized_stack, 0
	.set _ZN7rocprim17ROCPRIM_400000_NS6detail17trampoline_kernelINS0_14default_configENS1_22reduce_config_selectorI11minmax_pairIiEEEZNS1_11reduce_implILb1ES3_N6thrust23THRUST_200600_302600_NS11hip_rocprim26transform_input_iterator_tIS6_NSA_6detail15normal_iteratorINSA_10device_ptrIiEEEE15minmax_unary_opIiEEEPS6_S6_16minmax_binary_opIiEEE10hipError_tPvRmT1_T2_T3_mT4_P12ihipStream_tbEUlT_E0_NS1_11comp_targetILNS1_3genE8ELNS1_11target_archE1030ELNS1_3gpuE2ELNS1_3repE0EEENS1_30default_config_static_selectorELNS0_4arch9wavefront6targetE0EEEvSR_.has_recursion, 0
	.set _ZN7rocprim17ROCPRIM_400000_NS6detail17trampoline_kernelINS0_14default_configENS1_22reduce_config_selectorI11minmax_pairIiEEEZNS1_11reduce_implILb1ES3_N6thrust23THRUST_200600_302600_NS11hip_rocprim26transform_input_iterator_tIS6_NSA_6detail15normal_iteratorINSA_10device_ptrIiEEEE15minmax_unary_opIiEEEPS6_S6_16minmax_binary_opIiEEE10hipError_tPvRmT1_T2_T3_mT4_P12ihipStream_tbEUlT_E0_NS1_11comp_targetILNS1_3genE8ELNS1_11target_archE1030ELNS1_3gpuE2ELNS1_3repE0EEENS1_30default_config_static_selectorELNS0_4arch9wavefront6targetE0EEEvSR_.has_indirect_call, 0
	.section	.AMDGPU.csdata,"",@progbits
; Kernel info:
; codeLenInByte = 0
; TotalNumSgprs: 0
; NumVgprs: 0
; ScratchSize: 0
; MemoryBound: 0
; FloatMode: 240
; IeeeMode: 1
; LDSByteSize: 0 bytes/workgroup (compile time only)
; SGPRBlocks: 0
; VGPRBlocks: 0
; NumSGPRsForWavesPerEU: 1
; NumVGPRsForWavesPerEU: 1
; NamedBarCnt: 0
; Occupancy: 16
; WaveLimiterHint : 0
; COMPUTE_PGM_RSRC2:SCRATCH_EN: 0
; COMPUTE_PGM_RSRC2:USER_SGPR: 2
; COMPUTE_PGM_RSRC2:TRAP_HANDLER: 0
; COMPUTE_PGM_RSRC2:TGID_X_EN: 1
; COMPUTE_PGM_RSRC2:TGID_Y_EN: 0
; COMPUTE_PGM_RSRC2:TGID_Z_EN: 0
; COMPUTE_PGM_RSRC2:TIDIG_COMP_CNT: 0
	.section	.text._ZN7rocprim17ROCPRIM_400000_NS6detail17trampoline_kernelINS0_14default_configENS1_22reduce_config_selectorI11minmax_pairIiEEEZNS1_11reduce_implILb1ES3_N6thrust23THRUST_200600_302600_NS11hip_rocprim26transform_input_iterator_tIS6_NSA_6detail15normal_iteratorINSA_10device_ptrIiEEEE15minmax_unary_opIiEEEPS6_S6_16minmax_binary_opIiEEE10hipError_tPvRmT1_T2_T3_mT4_P12ihipStream_tbEUlT_E1_NS1_11comp_targetILNS1_3genE0ELNS1_11target_archE4294967295ELNS1_3gpuE0ELNS1_3repE0EEENS1_30default_config_static_selectorELNS0_4arch9wavefront6targetE0EEEvSR_,"axG",@progbits,_ZN7rocprim17ROCPRIM_400000_NS6detail17trampoline_kernelINS0_14default_configENS1_22reduce_config_selectorI11minmax_pairIiEEEZNS1_11reduce_implILb1ES3_N6thrust23THRUST_200600_302600_NS11hip_rocprim26transform_input_iterator_tIS6_NSA_6detail15normal_iteratorINSA_10device_ptrIiEEEE15minmax_unary_opIiEEEPS6_S6_16minmax_binary_opIiEEE10hipError_tPvRmT1_T2_T3_mT4_P12ihipStream_tbEUlT_E1_NS1_11comp_targetILNS1_3genE0ELNS1_11target_archE4294967295ELNS1_3gpuE0ELNS1_3repE0EEENS1_30default_config_static_selectorELNS0_4arch9wavefront6targetE0EEEvSR_,comdat
	.protected	_ZN7rocprim17ROCPRIM_400000_NS6detail17trampoline_kernelINS0_14default_configENS1_22reduce_config_selectorI11minmax_pairIiEEEZNS1_11reduce_implILb1ES3_N6thrust23THRUST_200600_302600_NS11hip_rocprim26transform_input_iterator_tIS6_NSA_6detail15normal_iteratorINSA_10device_ptrIiEEEE15minmax_unary_opIiEEEPS6_S6_16minmax_binary_opIiEEE10hipError_tPvRmT1_T2_T3_mT4_P12ihipStream_tbEUlT_E1_NS1_11comp_targetILNS1_3genE0ELNS1_11target_archE4294967295ELNS1_3gpuE0ELNS1_3repE0EEENS1_30default_config_static_selectorELNS0_4arch9wavefront6targetE0EEEvSR_ ; -- Begin function _ZN7rocprim17ROCPRIM_400000_NS6detail17trampoline_kernelINS0_14default_configENS1_22reduce_config_selectorI11minmax_pairIiEEEZNS1_11reduce_implILb1ES3_N6thrust23THRUST_200600_302600_NS11hip_rocprim26transform_input_iterator_tIS6_NSA_6detail15normal_iteratorINSA_10device_ptrIiEEEE15minmax_unary_opIiEEEPS6_S6_16minmax_binary_opIiEEE10hipError_tPvRmT1_T2_T3_mT4_P12ihipStream_tbEUlT_E1_NS1_11comp_targetILNS1_3genE0ELNS1_11target_archE4294967295ELNS1_3gpuE0ELNS1_3repE0EEENS1_30default_config_static_selectorELNS0_4arch9wavefront6targetE0EEEvSR_
	.globl	_ZN7rocprim17ROCPRIM_400000_NS6detail17trampoline_kernelINS0_14default_configENS1_22reduce_config_selectorI11minmax_pairIiEEEZNS1_11reduce_implILb1ES3_N6thrust23THRUST_200600_302600_NS11hip_rocprim26transform_input_iterator_tIS6_NSA_6detail15normal_iteratorINSA_10device_ptrIiEEEE15minmax_unary_opIiEEEPS6_S6_16minmax_binary_opIiEEE10hipError_tPvRmT1_T2_T3_mT4_P12ihipStream_tbEUlT_E1_NS1_11comp_targetILNS1_3genE0ELNS1_11target_archE4294967295ELNS1_3gpuE0ELNS1_3repE0EEENS1_30default_config_static_selectorELNS0_4arch9wavefront6targetE0EEEvSR_
	.p2align	8
	.type	_ZN7rocprim17ROCPRIM_400000_NS6detail17trampoline_kernelINS0_14default_configENS1_22reduce_config_selectorI11minmax_pairIiEEEZNS1_11reduce_implILb1ES3_N6thrust23THRUST_200600_302600_NS11hip_rocprim26transform_input_iterator_tIS6_NSA_6detail15normal_iteratorINSA_10device_ptrIiEEEE15minmax_unary_opIiEEEPS6_S6_16minmax_binary_opIiEEE10hipError_tPvRmT1_T2_T3_mT4_P12ihipStream_tbEUlT_E1_NS1_11comp_targetILNS1_3genE0ELNS1_11target_archE4294967295ELNS1_3gpuE0ELNS1_3repE0EEENS1_30default_config_static_selectorELNS0_4arch9wavefront6targetE0EEEvSR_,@function
_ZN7rocprim17ROCPRIM_400000_NS6detail17trampoline_kernelINS0_14default_configENS1_22reduce_config_selectorI11minmax_pairIiEEEZNS1_11reduce_implILb1ES3_N6thrust23THRUST_200600_302600_NS11hip_rocprim26transform_input_iterator_tIS6_NSA_6detail15normal_iteratorINSA_10device_ptrIiEEEE15minmax_unary_opIiEEEPS6_S6_16minmax_binary_opIiEEE10hipError_tPvRmT1_T2_T3_mT4_P12ihipStream_tbEUlT_E1_NS1_11comp_targetILNS1_3genE0ELNS1_11target_archE4294967295ELNS1_3gpuE0ELNS1_3repE0EEENS1_30default_config_static_selectorELNS0_4arch9wavefront6targetE0EEEvSR_: ; @_ZN7rocprim17ROCPRIM_400000_NS6detail17trampoline_kernelINS0_14default_configENS1_22reduce_config_selectorI11minmax_pairIiEEEZNS1_11reduce_implILb1ES3_N6thrust23THRUST_200600_302600_NS11hip_rocprim26transform_input_iterator_tIS6_NSA_6detail15normal_iteratorINSA_10device_ptrIiEEEE15minmax_unary_opIiEEEPS6_S6_16minmax_binary_opIiEEE10hipError_tPvRmT1_T2_T3_mT4_P12ihipStream_tbEUlT_E1_NS1_11comp_targetILNS1_3genE0ELNS1_11target_archE4294967295ELNS1_3gpuE0ELNS1_3repE0EEENS1_30default_config_static_selectorELNS0_4arch9wavefront6targetE0EEEvSR_
; %bb.0:
	s_clause 0x2
	s_load_b32 s26, s[0:1], 0x4
	s_load_b64 s[22:23], s[0:1], 0x8
	s_load_b128 s[16:19], s[0:1], 0x18
	s_wait_kmcnt 0x0
	s_cmp_lt_i32 s26, 4
	s_cbranch_scc1 .LBB28_11
; %bb.1:
	s_cmp_gt_i32 s26, 7
	s_cbranch_scc0 .LBB28_12
; %bb.2:
	s_cmp_gt_i32 s26, 15
	s_cbranch_scc0 .LBB28_13
; %bb.3:
	s_cmp_eq_u32 s26, 16
	s_mov_b32 s27, 0
	s_cbranch_scc0 .LBB28_14
; %bb.4:
	s_bfe_u32 s2, ttmp6, 0x4000c
	s_and_b32 s3, ttmp6, 15
	s_add_co_i32 s2, s2, 1
	s_getreg_b32 s4, hwreg(HW_REG_IB_STS2, 6, 4)
	s_mul_i32 s2, ttmp9, s2
	s_mov_b32 s21, 0
	s_add_co_i32 s3, s3, s2
	s_cmp_eq_u32 s4, 0
	s_cselect_b32 s20, ttmp9, s3
	s_mov_b32 s3, s21
	s_lshl_b32 s2, s20, 12
	s_lshr_b64 s[4:5], s[16:17], 12
	s_lshl_b64 s[6:7], s[2:3], 2
	s_cmp_lg_u64 s[4:5], s[20:21]
	s_add_nc_u64 s[24:25], s[22:23], s[6:7]
	s_cbranch_scc0 .LBB28_23
; %bb.5:
	s_clause 0xf
	global_load_b32 v1, v0, s[24:25] scale_offset
	global_load_b32 v2, v0, s[24:25] offset:1024 scale_offset
	global_load_b32 v3, v0, s[24:25] offset:2048 scale_offset
	;; [unrolled: 1-line block ×15, first 2 shown]
	s_mov_b32 s3, exec_lo
	s_wait_loadcnt 0xe
	v_min_i32_e32 v17, v2, v1
	v_max_i32_e32 v1, v1, v2
	s_wait_loadcnt 0xc
	s_delay_alu instid0(VALU_DEP_2) | instskip(NEXT) | instid1(VALU_DEP_2)
	v_min3_i32 v2, v4, v3, v17
	v_max3_i32 v1, v1, v3, v4
	s_wait_loadcnt 0xa
	s_delay_alu instid0(VALU_DEP_2) | instskip(NEXT) | instid1(VALU_DEP_2)
	v_min3_i32 v2, v6, v5, v2
	v_max3_i32 v1, v1, v5, v6
	v_mov_b32_e32 v5, 0
	s_wait_loadcnt 0x8
	s_delay_alu instid0(VALU_DEP_3) | instskip(NEXT) | instid1(VALU_DEP_3)
	v_min3_i32 v2, v8, v7, v2
	v_max3_i32 v1, v1, v7, v8
	s_wait_loadcnt 0x6
	s_delay_alu instid0(VALU_DEP_2) | instskip(NEXT) | instid1(VALU_DEP_2)
	v_min3_i32 v2, v10, v9, v2
	v_max3_i32 v1, v1, v9, v10
	s_wait_loadcnt 0x4
	s_delay_alu instid0(VALU_DEP_2) | instskip(NEXT) | instid1(VALU_DEP_2)
	v_min3_i32 v2, v12, v11, v2
	v_max3_i32 v1, v1, v11, v12
	s_wait_loadcnt 0x2
	s_delay_alu instid0(VALU_DEP_2) | instskip(NEXT) | instid1(VALU_DEP_2)
	v_min3_i32 v2, v14, v13, v2
	v_max3_i32 v1, v1, v13, v14
	s_wait_loadcnt 0x0
	s_delay_alu instid0(VALU_DEP_2) | instskip(NEXT) | instid1(VALU_DEP_2)
	v_min3_i32 v2, v16, v15, v2
	v_max3_i32 v1, v1, v15, v16
	s_delay_alu instid0(VALU_DEP_2) | instskip(NEXT) | instid1(VALU_DEP_2)
	v_mov_b32_dpp v3, v2 quad_perm:[1,0,3,2] row_mask:0xf bank_mask:0xf
	v_mov_b32_dpp v4, v1 quad_perm:[1,0,3,2] row_mask:0xf bank_mask:0xf
	s_delay_alu instid0(VALU_DEP_2) | instskip(NEXT) | instid1(VALU_DEP_2)
	v_min_i32_e32 v2, v2, v3
	v_max_i32_e32 v1, v4, v1
	s_delay_alu instid0(VALU_DEP_2) | instskip(NEXT) | instid1(VALU_DEP_2)
	v_mov_b32_dpp v3, v2 quad_perm:[2,3,0,1] row_mask:0xf bank_mask:0xf
	v_mov_b32_dpp v4, v1 quad_perm:[2,3,0,1] row_mask:0xf bank_mask:0xf
	s_delay_alu instid0(VALU_DEP_2) | instskip(NEXT) | instid1(VALU_DEP_2)
	v_min_i32_e32 v2, v2, v3
	v_max_i32_e32 v1, v4, v1
	s_delay_alu instid0(VALU_DEP_2) | instskip(NEXT) | instid1(VALU_DEP_2)
	v_mov_b32_dpp v3, v2 row_ror:4 row_mask:0xf bank_mask:0xf
	v_mov_b32_dpp v4, v1 row_ror:4 row_mask:0xf bank_mask:0xf
	s_delay_alu instid0(VALU_DEP_2) | instskip(NEXT) | instid1(VALU_DEP_2)
	v_min_i32_e32 v2, v2, v3
	v_max_i32_e32 v1, v4, v1
	s_delay_alu instid0(VALU_DEP_2) | instskip(NEXT) | instid1(VALU_DEP_2)
	v_mov_b32_dpp v3, v2 row_ror:8 row_mask:0xf bank_mask:0xf
	v_mov_b32_dpp v4, v1 row_ror:8 row_mask:0xf bank_mask:0xf
	s_delay_alu instid0(VALU_DEP_2) | instskip(NEXT) | instid1(VALU_DEP_2)
	v_min_i32_e32 v2, v2, v3
	v_max_i32_e32 v1, v4, v1
	ds_swizzle_b32 v3, v2 offset:swizzle(BROADCAST,32,15)
	ds_swizzle_b32 v4, v1 offset:swizzle(BROADCAST,32,15)
	s_wait_dscnt 0x1
	v_min_i32_e32 v2, v2, v3
	s_wait_dscnt 0x0
	v_max_i32_e32 v1, v4, v1
	ds_bpermute_b32 v2, v5, v2 offset:124
	ds_bpermute_b32 v3, v5, v1 offset:124
	v_mbcnt_lo_u32_b32 v1, -1, 0
	s_delay_alu instid0(VALU_DEP_1)
	v_cmpx_eq_u32_e32 0, v1
	s_cbranch_execz .LBB28_7
; %bb.6:
	v_lshrrev_b32_e32 v4, 2, v0
	s_delay_alu instid0(VALU_DEP_1)
	v_and_b32_e32 v4, 56, v4
	s_wait_dscnt 0x0
	ds_store_b64 v4, v[2:3] offset:64
.LBB28_7:
	s_or_b32 exec_lo, exec_lo, s3
	s_delay_alu instid0(SALU_CYCLE_1)
	s_mov_b32 s3, exec_lo
	s_wait_dscnt 0x0
	s_barrier_signal -1
	s_barrier_wait -1
	v_cmpx_gt_u32_e32 32, v0
	s_cbranch_execz .LBB28_9
; %bb.8:
	v_and_b32_e32 v4, 7, v1
	s_delay_alu instid0(VALU_DEP_1) | instskip(SKIP_3) | instid1(VALU_DEP_3)
	v_cmp_ne_u32_e32 vcc_lo, 7, v4
	v_add_co_ci_u32_e64 v5, null, 0, v1, vcc_lo
	v_lshlrev_b32_e32 v2, 3, v4
	v_cmp_gt_u32_e32 vcc_lo, 6, v4
	v_lshlrev_b32_e32 v5, 2, v5
	ds_load_b64 v[2:3], v2 offset:64
	v_cndmask_b32_e64 v4, 0, 2, vcc_lo
	s_delay_alu instid0(VALU_DEP_1) | instskip(SKIP_1) | instid1(VALU_DEP_1)
	v_add_lshl_u32 v4, v4, v1, 2
	v_lshlrev_b32_e32 v1, 2, v1
	v_or_b32_e32 v1, 16, v1
	s_wait_dscnt 0x0
	ds_bpermute_b32 v6, v5, v2
	ds_bpermute_b32 v5, v5, v3
	s_wait_dscnt 0x1
	v_min_i32_e32 v2, v6, v2
	s_wait_dscnt 0x0
	v_max_i32_e32 v3, v3, v5
	ds_bpermute_b32 v5, v4, v2
	ds_bpermute_b32 v4, v4, v3
	s_wait_dscnt 0x1
	v_min_i32_e32 v2, v5, v2
	s_wait_dscnt 0x0
	v_max_i32_e32 v3, v3, v4
	;; [unrolled: 6-line block ×3, first 2 shown]
.LBB28_9:
	s_or_b32 exec_lo, exec_lo, s3
.LBB28_10:
	v_cmp_eq_u32_e64 s2, 0, v0
	s_and_b32 vcc_lo, exec_lo, s27
	s_cbranch_vccnz .LBB28_15
	s_branch .LBB28_61
.LBB28_11:
	s_mov_b32 s2, 0
                                        ; implicit-def: $vgpr3
                                        ; implicit-def: $sgpr20_sgpr21
	s_cbranch_execnz .LBB28_110
	s_branch .LBB28_140
.LBB28_12:
	s_mov_b32 s2, 0
                                        ; implicit-def: $vgpr3
                                        ; implicit-def: $sgpr20_sgpr21
	s_cbranch_execnz .LBB28_86
	s_branch .LBB28_94
.LBB28_13:
	s_mov_b32 s27, -1
.LBB28_14:
	s_mov_b32 s2, 0
                                        ; implicit-def: $vgpr3
                                        ; implicit-def: $sgpr20_sgpr21
	s_and_b32 vcc_lo, exec_lo, s27
	s_cbranch_vccz .LBB28_61
.LBB28_15:
	s_cmp_eq_u32 s26, 8
	s_cbranch_scc0 .LBB28_22
; %bb.16:
	s_bfe_u32 s2, ttmp6, 0x4000c
	s_and_b32 s3, ttmp6, 15
	s_add_co_i32 s2, s2, 1
	s_getreg_b32 s4, hwreg(HW_REG_IB_STS2, 6, 4)
	s_mul_i32 s2, ttmp9, s2
	s_mov_b32 s21, 0
	s_add_co_i32 s3, s3, s2
	s_cmp_eq_u32 s4, 0
	s_cselect_b32 s20, ttmp9, s3
	s_mov_b32 s3, s21
	s_lshl_b32 s2, s20, 11
	s_lshr_b64 s[4:5], s[16:17], 11
	s_lshl_b64 s[6:7], s[2:3], 2
	s_cmp_lg_u64 s[4:5], s[20:21]
	s_add_nc_u64 s[8:9], s[22:23], s[6:7]
	s_cbranch_scc0 .LBB28_62
; %bb.17:
	s_clause 0x7
	global_load_b32 v1, v0, s[8:9] scale_offset
	global_load_b32 v2, v0, s[8:9] offset:1024 scale_offset
	global_load_b32 v3, v0, s[8:9] offset:2048 scale_offset
	;; [unrolled: 1-line block ×7, first 2 shown]
	s_mov_b32 s3, exec_lo
	s_wait_loadcnt 0x6
	v_min_i32_e32 v9, v2, v1
	v_max_i32_e32 v1, v1, v2
	s_wait_loadcnt 0x4
	s_delay_alu instid0(VALU_DEP_2) | instskip(NEXT) | instid1(VALU_DEP_2)
	v_min3_i32 v2, v4, v3, v9
	v_max3_i32 v1, v1, v3, v4
	s_wait_loadcnt 0x2
	s_delay_alu instid0(VALU_DEP_2) | instskip(NEXT) | instid1(VALU_DEP_2)
	v_min3_i32 v2, v6, v5, v2
	v_max3_i32 v1, v1, v5, v6
	v_mov_b32_e32 v5, 0
	s_wait_loadcnt 0x0
	s_delay_alu instid0(VALU_DEP_3) | instskip(NEXT) | instid1(VALU_DEP_3)
	v_min3_i32 v2, v8, v7, v2
	v_max3_i32 v1, v1, v7, v8
	s_delay_alu instid0(VALU_DEP_2) | instskip(NEXT) | instid1(VALU_DEP_2)
	v_mov_b32_dpp v3, v2 quad_perm:[1,0,3,2] row_mask:0xf bank_mask:0xf
	v_mov_b32_dpp v4, v1 quad_perm:[1,0,3,2] row_mask:0xf bank_mask:0xf
	s_delay_alu instid0(VALU_DEP_2) | instskip(NEXT) | instid1(VALU_DEP_2)
	v_min_i32_e32 v2, v2, v3
	v_max_i32_e32 v1, v4, v1
	s_delay_alu instid0(VALU_DEP_2) | instskip(NEXT) | instid1(VALU_DEP_2)
	v_mov_b32_dpp v3, v2 quad_perm:[2,3,0,1] row_mask:0xf bank_mask:0xf
	v_mov_b32_dpp v4, v1 quad_perm:[2,3,0,1] row_mask:0xf bank_mask:0xf
	s_delay_alu instid0(VALU_DEP_2) | instskip(NEXT) | instid1(VALU_DEP_2)
	v_min_i32_e32 v2, v2, v3
	v_max_i32_e32 v1, v4, v1
	s_delay_alu instid0(VALU_DEP_2) | instskip(NEXT) | instid1(VALU_DEP_2)
	v_mov_b32_dpp v3, v2 row_ror:4 row_mask:0xf bank_mask:0xf
	v_mov_b32_dpp v4, v1 row_ror:4 row_mask:0xf bank_mask:0xf
	s_delay_alu instid0(VALU_DEP_2) | instskip(NEXT) | instid1(VALU_DEP_2)
	v_min_i32_e32 v2, v2, v3
	v_max_i32_e32 v1, v4, v1
	s_delay_alu instid0(VALU_DEP_2) | instskip(NEXT) | instid1(VALU_DEP_2)
	v_mov_b32_dpp v3, v2 row_ror:8 row_mask:0xf bank_mask:0xf
	v_mov_b32_dpp v4, v1 row_ror:8 row_mask:0xf bank_mask:0xf
	s_delay_alu instid0(VALU_DEP_2) | instskip(NEXT) | instid1(VALU_DEP_2)
	v_min_i32_e32 v2, v2, v3
	v_max_i32_e32 v1, v4, v1
	ds_swizzle_b32 v3, v2 offset:swizzle(BROADCAST,32,15)
	ds_swizzle_b32 v4, v1 offset:swizzle(BROADCAST,32,15)
	s_wait_dscnt 0x1
	v_min_i32_e32 v2, v2, v3
	s_wait_dscnt 0x0
	v_max_i32_e32 v1, v4, v1
	ds_bpermute_b32 v2, v5, v2 offset:124
	ds_bpermute_b32 v3, v5, v1 offset:124
	v_mbcnt_lo_u32_b32 v1, -1, 0
	s_delay_alu instid0(VALU_DEP_1)
	v_cmpx_eq_u32_e32 0, v1
	s_cbranch_execz .LBB28_19
; %bb.18:
	v_lshrrev_b32_e32 v4, 2, v0
	s_delay_alu instid0(VALU_DEP_1)
	v_and_b32_e32 v4, 56, v4
	s_wait_dscnt 0x0
	ds_store_b64 v4, v[2:3] offset:320
.LBB28_19:
	s_or_b32 exec_lo, exec_lo, s3
	s_delay_alu instid0(SALU_CYCLE_1)
	s_mov_b32 s3, exec_lo
	s_wait_dscnt 0x0
	s_barrier_signal -1
	s_barrier_wait -1
	v_cmpx_gt_u32_e32 32, v0
	s_cbranch_execz .LBB28_21
; %bb.20:
	v_and_b32_e32 v4, 7, v1
	s_delay_alu instid0(VALU_DEP_1) | instskip(SKIP_3) | instid1(VALU_DEP_3)
	v_cmp_ne_u32_e32 vcc_lo, 7, v4
	v_add_co_ci_u32_e64 v5, null, 0, v1, vcc_lo
	v_lshlrev_b32_e32 v2, 3, v4
	v_cmp_gt_u32_e32 vcc_lo, 6, v4
	v_lshlrev_b32_e32 v5, 2, v5
	ds_load_b64 v[2:3], v2 offset:320
	v_cndmask_b32_e64 v4, 0, 2, vcc_lo
	s_delay_alu instid0(VALU_DEP_1) | instskip(SKIP_1) | instid1(VALU_DEP_1)
	v_add_lshl_u32 v4, v4, v1, 2
	v_lshlrev_b32_e32 v1, 2, v1
	v_or_b32_e32 v1, 16, v1
	s_wait_dscnt 0x0
	ds_bpermute_b32 v6, v5, v2
	ds_bpermute_b32 v5, v5, v3
	s_wait_dscnt 0x1
	v_min_i32_e32 v2, v6, v2
	s_wait_dscnt 0x0
	v_max_i32_e32 v3, v3, v5
	ds_bpermute_b32 v5, v4, v2
	ds_bpermute_b32 v4, v4, v3
	s_wait_dscnt 0x1
	v_min_i32_e32 v2, v5, v2
	s_wait_dscnt 0x0
	v_max_i32_e32 v3, v3, v4
	;; [unrolled: 6-line block ×3, first 2 shown]
.LBB28_21:
	s_or_b32 exec_lo, exec_lo, s3
	s_mov_b32 s3, 0
	s_branch .LBB28_63
.LBB28_22:
                                        ; implicit-def: $vgpr3
                                        ; implicit-def: $sgpr20_sgpr21
	s_branch .LBB28_94
.LBB28_23:
                                        ; implicit-def: $vgpr3
	s_cbranch_execz .LBB28_10
; %bb.24:
	s_sub_co_i32 s28, s16, s2
	s_mov_b32 s2, exec_lo
                                        ; implicit-def: $vgpr2_vgpr3
	v_cmpx_gt_u32_e64 s28, v0
	s_cbranch_execz .LBB28_26
; %bb.25:
	global_load_b32 v2, v0, s[24:25] scale_offset
	s_wait_loadcnt 0x0
	v_mov_b32_e32 v3, v2
.LBB28_26:
	s_or_b32 exec_lo, exec_lo, s2
	v_or_b32_e32 v1, 0x100, v0
	s_delay_alu instid0(VALU_DEP_1)
	v_cmp_gt_u32_e32 vcc_lo, s28, v1
                                        ; implicit-def: $vgpr1
	s_and_saveexec_b32 s2, vcc_lo
	s_cbranch_execz .LBB28_28
; %bb.27:
	global_load_b32 v1, v0, s[24:25] offset:1024 scale_offset
.LBB28_28:
	s_wait_xcnt 0x0
	s_or_b32 exec_lo, exec_lo, s2
	v_or_b32_e32 v4, 0x200, v0
	s_delay_alu instid0(VALU_DEP_1)
	v_cmp_gt_u32_e64 s2, s28, v4
                                        ; implicit-def: $vgpr4
	s_and_saveexec_b32 s3, s2
	s_cbranch_execz .LBB28_30
; %bb.29:
	global_load_b32 v4, v0, s[24:25] offset:2048 scale_offset
.LBB28_30:
	s_wait_xcnt 0x0
	s_or_b32 exec_lo, exec_lo, s3
	v_or_b32_e32 v5, 0x300, v0
	s_delay_alu instid0(VALU_DEP_1)
	v_cmp_gt_u32_e64 s3, s28, v5
                                        ; implicit-def: $vgpr5
	s_and_saveexec_b32 s4, s3
	s_cbranch_execz .LBB28_32
; %bb.31:
	global_load_b32 v5, v0, s[24:25] offset:3072 scale_offset
.LBB28_32:
	s_wait_xcnt 0x0
	s_or_b32 exec_lo, exec_lo, s4
	v_or_b32_e32 v6, 0x400, v0
	s_delay_alu instid0(VALU_DEP_1)
	v_cmp_gt_u32_e64 s4, s28, v6
                                        ; implicit-def: $vgpr6
	s_and_saveexec_b32 s5, s4
	s_cbranch_execz .LBB28_34
; %bb.33:
	global_load_b32 v6, v0, s[24:25] offset:4096 scale_offset
.LBB28_34:
	s_wait_xcnt 0x0
	s_or_b32 exec_lo, exec_lo, s5
	v_or_b32_e32 v7, 0x500, v0
	s_delay_alu instid0(VALU_DEP_1)
	v_cmp_gt_u32_e64 s5, s28, v7
                                        ; implicit-def: $vgpr7
	s_and_saveexec_b32 s6, s5
	s_cbranch_execz .LBB28_36
; %bb.35:
	global_load_b32 v7, v0, s[24:25] offset:5120 scale_offset
.LBB28_36:
	s_wait_xcnt 0x0
	s_or_b32 exec_lo, exec_lo, s6
	v_or_b32_e32 v8, 0x600, v0
	s_delay_alu instid0(VALU_DEP_1)
	v_cmp_gt_u32_e64 s6, s28, v8
                                        ; implicit-def: $vgpr8
	s_and_saveexec_b32 s7, s6
	s_cbranch_execz .LBB28_38
; %bb.37:
	global_load_b32 v8, v0, s[24:25] offset:6144 scale_offset
.LBB28_38:
	s_wait_xcnt 0x0
	s_or_b32 exec_lo, exec_lo, s7
	v_or_b32_e32 v9, 0x700, v0
	s_delay_alu instid0(VALU_DEP_1)
	v_cmp_gt_u32_e64 s7, s28, v9
                                        ; implicit-def: $vgpr9
	s_and_saveexec_b32 s8, s7
	s_cbranch_execz .LBB28_40
; %bb.39:
	global_load_b32 v9, v0, s[24:25] offset:7168 scale_offset
.LBB28_40:
	s_wait_xcnt 0x0
	s_or_b32 exec_lo, exec_lo, s8
	v_or_b32_e32 v10, 0x800, v0
	s_delay_alu instid0(VALU_DEP_1)
	v_cmp_gt_u32_e64 s8, s28, v10
                                        ; implicit-def: $vgpr10
	s_and_saveexec_b32 s9, s8
	s_cbranch_execz .LBB28_42
; %bb.41:
	global_load_b32 v10, v0, s[24:25] offset:8192 scale_offset
.LBB28_42:
	s_wait_xcnt 0x0
	s_or_b32 exec_lo, exec_lo, s9
	v_or_b32_e32 v11, 0x900, v0
	s_delay_alu instid0(VALU_DEP_1)
	v_cmp_gt_u32_e64 s9, s28, v11
                                        ; implicit-def: $vgpr11
	s_and_saveexec_b32 s10, s9
	s_cbranch_execz .LBB28_44
; %bb.43:
	global_load_b32 v11, v0, s[24:25] offset:9216 scale_offset
.LBB28_44:
	s_wait_xcnt 0x0
	s_or_b32 exec_lo, exec_lo, s10
	v_or_b32_e32 v12, 0xa00, v0
	s_delay_alu instid0(VALU_DEP_1)
	v_cmp_gt_u32_e64 s10, s28, v12
                                        ; implicit-def: $vgpr12
	s_and_saveexec_b32 s11, s10
	s_cbranch_execz .LBB28_46
; %bb.45:
	global_load_b32 v12, v0, s[24:25] offset:10240 scale_offset
.LBB28_46:
	s_wait_xcnt 0x0
	s_or_b32 exec_lo, exec_lo, s11
	v_or_b32_e32 v13, 0xb00, v0
	s_delay_alu instid0(VALU_DEP_1)
	v_cmp_gt_u32_e64 s11, s28, v13
                                        ; implicit-def: $vgpr13
	s_and_saveexec_b32 s12, s11
	s_cbranch_execz .LBB28_48
; %bb.47:
	global_load_b32 v13, v0, s[24:25] offset:11264 scale_offset
.LBB28_48:
	s_wait_xcnt 0x0
	s_or_b32 exec_lo, exec_lo, s12
	v_or_b32_e32 v14, 0xc00, v0
	s_delay_alu instid0(VALU_DEP_1)
	v_cmp_gt_u32_e64 s12, s28, v14
                                        ; implicit-def: $vgpr14
	s_and_saveexec_b32 s13, s12
	s_cbranch_execz .LBB28_50
; %bb.49:
	global_load_b32 v14, v0, s[24:25] offset:12288 scale_offset
.LBB28_50:
	s_wait_xcnt 0x0
	s_or_b32 exec_lo, exec_lo, s13
	v_or_b32_e32 v15, 0xd00, v0
	s_delay_alu instid0(VALU_DEP_1)
	v_cmp_gt_u32_e64 s13, s28, v15
                                        ; implicit-def: $vgpr15
	s_and_saveexec_b32 s14, s13
	s_cbranch_execz .LBB28_52
; %bb.51:
	global_load_b32 v15, v0, s[24:25] offset:13312 scale_offset
.LBB28_52:
	s_wait_xcnt 0x0
	s_or_b32 exec_lo, exec_lo, s14
	v_or_b32_e32 v16, 0xe00, v0
                                        ; implicit-def: $vgpr17
	s_delay_alu instid0(VALU_DEP_1)
	v_cmp_gt_u32_e64 s14, s28, v16
	s_and_saveexec_b32 s15, s14
	s_cbranch_execz .LBB28_54
; %bb.53:
	global_load_b32 v17, v0, s[24:25] offset:14336 scale_offset
.LBB28_54:
	s_wait_xcnt 0x0
	s_or_b32 exec_lo, exec_lo, s15
	v_or_b32_e32 v16, 0xf00, v0
	s_delay_alu instid0(VALU_DEP_1)
	v_cmp_gt_u32_e64 s15, s28, v16
                                        ; implicit-def: $vgpr16
	s_and_saveexec_b32 s29, s15
	s_cbranch_execz .LBB28_56
; %bb.55:
	global_load_b32 v16, v0, s[24:25] offset:15360 scale_offset
.LBB28_56:
	s_wait_xcnt 0x0
	s_or_b32 exec_lo, exec_lo, s29
	s_wait_loadcnt 0x0
	v_min_i32_e32 v18, v1, v2
	v_max_i32_e32 v1, v3, v1
	s_delay_alu instid0(VALU_DEP_1) | instskip(NEXT) | instid1(VALU_DEP_1)
	v_dual_cndmask_b32 v1, v3, v1 :: v_dual_cndmask_b32 v2, v2, v18
	v_min_i32_e32 v3, v4, v2
	s_delay_alu instid0(VALU_DEP_2) | instskip(NEXT) | instid1(VALU_DEP_1)
	v_max_i32_e32 v4, v1, v4
	v_dual_cndmask_b32 v1, v1, v4, s2 :: v_dual_cndmask_b32 v2, v2, v3, s2
	s_min_u32 s2, s28, 0x100
	s_delay_alu instid0(VALU_DEP_1) | instskip(NEXT) | instid1(VALU_DEP_1)
	v_min_i32_e32 v3, v5, v2
	v_dual_cndmask_b32 v2, v2, v3, s3 :: v_dual_max_i32 v4, v1, v5
	s_delay_alu instid0(VALU_DEP_1) | instskip(SKIP_1) | instid1(VALU_DEP_2)
	v_cndmask_b32_e64 v1, v1, v4, s3
	s_mov_b32 s3, exec_lo
	v_min_i32_e32 v3, v6, v2
	s_delay_alu instid0(VALU_DEP_1) | instskip(NEXT) | instid1(VALU_DEP_1)
	v_dual_cndmask_b32 v2, v2, v3, s4 :: v_dual_max_i32 v4, v1, v6
	v_dual_cndmask_b32 v1, v1, v4, s4 :: v_dual_min_i32 v3, v7, v2
	s_delay_alu instid0(VALU_DEP_1) | instskip(NEXT) | instid1(VALU_DEP_1)
	v_max_i32_e32 v4, v1, v7
	v_dual_cndmask_b32 v2, v2, v3, s5 :: v_dual_cndmask_b32 v1, v1, v4, s5
	s_delay_alu instid0(VALU_DEP_1) | instskip(NEXT) | instid1(VALU_DEP_1)
	v_max_i32_e32 v4, v1, v8
	v_dual_cndmask_b32 v1, v1, v4, s6 :: v_dual_min_i32 v3, v8, v2
	s_delay_alu instid0(VALU_DEP_1) | instskip(NEXT) | instid1(VALU_DEP_1)
	v_cndmask_b32_e64 v2, v2, v3, s6
	v_min_i32_e32 v3, v9, v2
	s_delay_alu instid0(VALU_DEP_1) | instskip(NEXT) | instid1(VALU_DEP_1)
	v_dual_cndmask_b32 v2, v2, v3, s7 :: v_dual_max_i32 v4, v1, v9
	v_dual_cndmask_b32 v1, v1, v4, s7 :: v_dual_min_i32 v3, v10, v2
	s_delay_alu instid0(VALU_DEP_1) | instskip(NEXT) | instid1(VALU_DEP_1)
	v_dual_cndmask_b32 v2, v2, v3, s8 :: v_dual_max_i32 v4, v1, v10
	v_dual_cndmask_b32 v1, v1, v4, s8 :: v_dual_min_i32 v3, v11, v2
	s_delay_alu instid0(VALU_DEP_1) | instskip(NEXT) | instid1(VALU_DEP_1)
	v_max_i32_e32 v4, v1, v11
	v_dual_cndmask_b32 v2, v2, v3, s9 :: v_dual_cndmask_b32 v1, v1, v4, s9
	s_delay_alu instid0(VALU_DEP_1) | instskip(NEXT) | instid1(VALU_DEP_1)
	v_max_i32_e32 v4, v1, v12
	v_dual_cndmask_b32 v1, v1, v4, s10 :: v_dual_min_i32 v3, v12, v2
	s_delay_alu instid0(VALU_DEP_1) | instskip(NEXT) | instid1(VALU_DEP_1)
	v_cndmask_b32_e64 v2, v2, v3, s10
	v_min_i32_e32 v3, v13, v2
	s_delay_alu instid0(VALU_DEP_1) | instskip(NEXT) | instid1(VALU_DEP_1)
	v_dual_cndmask_b32 v2, v2, v3, s11 :: v_dual_max_i32 v4, v1, v13
	v_dual_cndmask_b32 v1, v1, v4, s11 :: v_dual_min_i32 v3, v14, v2
	s_delay_alu instid0(VALU_DEP_1) | instskip(NEXT) | instid1(VALU_DEP_1)
	v_dual_cndmask_b32 v2, v2, v3, s12 :: v_dual_max_i32 v4, v1, v14
	v_dual_cndmask_b32 v1, v1, v4, s12 :: v_dual_min_i32 v3, v15, v2
	s_delay_alu instid0(VALU_DEP_1) | instskip(NEXT) | instid1(VALU_DEP_1)
	v_max_i32_e32 v4, v1, v15
	v_dual_cndmask_b32 v2, v2, v3, s13 :: v_dual_cndmask_b32 v3, v1, v4, s13
	v_mbcnt_lo_u32_b32 v1, -1, 0
	s_delay_alu instid0(VALU_DEP_2) | instskip(NEXT) | instid1(VALU_DEP_3)
	v_min_i32_e32 v4, v17, v2
	v_max_i32_e32 v5, v3, v17
	s_delay_alu instid0(VALU_DEP_3) | instskip(NEXT) | instid1(VALU_DEP_3)
	v_cmp_ne_u32_e32 vcc_lo, 31, v1
	v_dual_add_nc_u32 v7, 1, v1 :: v_dual_cndmask_b32 v2, v2, v4, s14
	s_delay_alu instid0(VALU_DEP_3) | instskip(SKIP_2) | instid1(VALU_DEP_4)
	v_cndmask_b32_e64 v3, v3, v5, s14
	v_add_co_ci_u32_e64 v4, null, 0, v1, vcc_lo
	v_cmp_gt_u32_e32 vcc_lo, 30, v1
	v_min_i32_e32 v5, v16, v2
	s_delay_alu instid0(VALU_DEP_4) | instskip(NEXT) | instid1(VALU_DEP_4)
	v_max_i32_e32 v6, v3, v16
	v_lshlrev_b32_e32 v4, 2, v4
	v_cndmask_b32_e64 v8, 0, 2, vcc_lo
	s_delay_alu instid0(VALU_DEP_3) | instskip(SKIP_4) | instid1(VALU_DEP_1)
	v_dual_cndmask_b32 v2, v2, v5, s15 :: v_dual_cndmask_b32 v3, v3, v6, s15
	v_and_b32_e32 v6, 0xe0, v0
	ds_bpermute_b32 v5, v4, v2
	ds_bpermute_b32 v4, v4, v3
	v_sub_nc_u32_e64 v6, s2, v6 clamp
	v_cmp_lt_u32_e32 vcc_lo, v7, v6
	v_add_lshl_u32 v7, v8, v1, 2
	s_wait_dscnt 0x1
	v_min_i32_e32 v5, v5, v2
	s_wait_dscnt 0x0
	s_delay_alu instid0(VALU_DEP_1) | instskip(NEXT) | instid1(VALU_DEP_1)
	v_dual_cndmask_b32 v2, v2, v5, vcc_lo :: v_dual_max_i32 v4, v3, v4
	v_cndmask_b32_e32 v3, v3, v4, vcc_lo
	v_cmp_gt_u32_e32 vcc_lo, 28, v1
	ds_bpermute_b32 v4, v7, v2
	ds_bpermute_b32 v5, v7, v3
	v_add_nc_u32_e32 v7, 2, v1
	v_cndmask_b32_e64 v8, 0, 4, vcc_lo
	s_delay_alu instid0(VALU_DEP_2) | instskip(NEXT) | instid1(VALU_DEP_2)
	v_cmp_lt_u32_e32 vcc_lo, v7, v6
	v_add_lshl_u32 v7, v8, v1, 2
	s_wait_dscnt 0x0
	v_max_i32_e32 v5, v3, v5
	s_delay_alu instid0(VALU_DEP_1) | instskip(SKIP_4) | instid1(VALU_DEP_1)
	v_cndmask_b32_e32 v3, v3, v5, vcc_lo
	ds_bpermute_b32 v5, v7, v3
	s_wait_dscnt 0x0
	v_max_i32_e32 v5, v3, v5
	v_min_i32_e32 v4, v4, v2
	v_cndmask_b32_e32 v2, v2, v4, vcc_lo
	v_cmp_gt_u32_e32 vcc_lo, 24, v1
	ds_bpermute_b32 v4, v7, v2
	v_add_nc_u32_e32 v7, 4, v1
	v_cndmask_b32_e64 v8, 0, 8, vcc_lo
	s_delay_alu instid0(VALU_DEP_2) | instskip(NEXT) | instid1(VALU_DEP_2)
	v_cmp_lt_u32_e32 vcc_lo, v7, v6
	v_add_lshl_u32 v7, v8, v1, 2
	v_add_nc_u32_e32 v8, 8, v1
	s_wait_dscnt 0x0
	v_dual_cndmask_b32 v3, v3, v5 :: v_dual_min_i32 v4, v4, v2
	s_delay_alu instid0(VALU_DEP_1) | instskip(NEXT) | instid1(VALU_DEP_3)
	v_cndmask_b32_e32 v2, v2, v4, vcc_lo
	v_cmp_lt_u32_e32 vcc_lo, v8, v6
	ds_bpermute_b32 v5, v7, v2
	ds_bpermute_b32 v7, v7, v3
	s_wait_dscnt 0x1
	v_dual_lshlrev_b32 v4, 2, v1 :: v_dual_min_i32 v5, v5, v2
	s_wait_dscnt 0x0
	s_delay_alu instid0(VALU_DEP_1) | instskip(NEXT) | instid1(VALU_DEP_1)
	v_dual_cndmask_b32 v2, v2, v5 :: v_dual_max_i32 v7, v3, v7
	v_dual_cndmask_b32 v3, v3, v7, vcc_lo :: v_dual_bitop2_b32 v8, 64, v4 bitop3:0x54
	ds_bpermute_b32 v7, v8, v2
	ds_bpermute_b32 v5, v8, v3
	s_wait_dscnt 0x1
	v_dual_add_nc_u32 v8, 16, v1 :: v_dual_min_i32 v7, v7, v2
	s_wait_dscnt 0x0
	v_max_i32_e32 v5, v3, v5
	s_delay_alu instid0(VALU_DEP_2) | instskip(NEXT) | instid1(VALU_DEP_2)
	v_cmp_lt_u32_e32 vcc_lo, v8, v6
	v_dual_cndmask_b32 v2, v2, v7 :: v_dual_cndmask_b32 v3, v3, v5
	v_cmpx_eq_u32_e32 0, v1
; %bb.57:
	v_lshrrev_b32_e32 v5, 2, v0
	s_delay_alu instid0(VALU_DEP_1)
	v_and_b32_e32 v5, 56, v5
	ds_store_b64 v5, v[2:3]
; %bb.58:
	s_or_b32 exec_lo, exec_lo, s3
	s_delay_alu instid0(SALU_CYCLE_1)
	s_mov_b32 s3, exec_lo
	s_wait_dscnt 0x0
	s_barrier_signal -1
	s_barrier_wait -1
	v_cmpx_gt_u32_e32 8, v0
	s_cbranch_execz .LBB28_60
; %bb.59:
	v_dual_lshlrev_b32 v2, 3, v1 :: v_dual_bitop2_b32 v5, 7, v1 bitop3:0x40
	s_add_co_i32 s2, s2, 31
	s_delay_alu instid0(SALU_CYCLE_1)
	s_lshr_b32 s2, s2, 5
	ds_load_b64 v[2:3], v2
	v_cmp_ne_u32_e32 vcc_lo, 7, v5
	v_add_nc_u32_e32 v8, 1, v5
	v_add_co_ci_u32_e64 v6, null, 0, v1, vcc_lo
	v_cmp_gt_u32_e32 vcc_lo, 6, v5
	s_delay_alu instid0(VALU_DEP_2) | instskip(SKIP_2) | instid1(VALU_DEP_2)
	v_lshlrev_b32_e32 v6, 2, v6
	v_cndmask_b32_e64 v9, 0, 2, vcc_lo
	v_cmp_gt_u32_e32 vcc_lo, s2, v8
	v_add_lshl_u32 v1, v9, v1, 2
	s_wait_dscnt 0x0
	ds_bpermute_b32 v7, v6, v2
	ds_bpermute_b32 v6, v6, v3
	s_wait_dscnt 0x1
	v_min_i32_e32 v7, v7, v2
	s_wait_dscnt 0x0
	s_delay_alu instid0(VALU_DEP_1) | instskip(NEXT) | instid1(VALU_DEP_1)
	v_dual_cndmask_b32 v2, v2, v7, vcc_lo :: v_dual_max_i32 v6, v3, v6
	v_dual_cndmask_b32 v3, v3, v6, vcc_lo :: v_dual_add_nc_u32 v7, 2, v5
	v_add_nc_u32_e32 v5, 4, v5
	ds_bpermute_b32 v6, v1, v2
	ds_bpermute_b32 v1, v1, v3
	v_cmp_gt_u32_e32 vcc_lo, s2, v7
	s_wait_dscnt 0x0
	v_max_i32_e32 v1, v3, v1
	s_delay_alu instid0(VALU_DEP_1) | instskip(NEXT) | instid1(VALU_DEP_1)
	v_dual_cndmask_b32 v1, v3, v1 :: v_dual_min_i32 v6, v6, v2
	v_cndmask_b32_e32 v2, v2, v6, vcc_lo
	v_cmp_gt_u32_e32 vcc_lo, s2, v5
	v_or_b32_e32 v4, 16, v4
	ds_bpermute_b32 v3, v4, v1
	s_wait_dscnt 0x0
	v_max_i32_e32 v3, v1, v3
	s_delay_alu instid0(VALU_DEP_1) | instskip(SKIP_3) | instid1(VALU_DEP_1)
	v_cndmask_b32_e32 v3, v1, v3, vcc_lo
	ds_bpermute_b32 v4, v4, v2
	s_wait_dscnt 0x0
	v_min_i32_e32 v4, v4, v2
	v_cndmask_b32_e32 v2, v2, v4, vcc_lo
.LBB28_60:
	s_or_b32 exec_lo, exec_lo, s3
	v_cmp_eq_u32_e64 s2, 0, v0
	s_and_b32 vcc_lo, exec_lo, s27
	s_cbranch_vccnz .LBB28_15
.LBB28_61:
	s_branch .LBB28_94
.LBB28_62:
	s_mov_b32 s3, -1
                                        ; implicit-def: $vgpr3
.LBB28_63:
	s_delay_alu instid0(SALU_CYCLE_1)
	s_and_b32 vcc_lo, exec_lo, s3
	s_cbranch_vccz .LBB28_85
; %bb.64:
	s_sub_co_i32 s10, s16, s2
	s_mov_b32 s2, exec_lo
                                        ; implicit-def: $vgpr2_vgpr3
	v_cmpx_gt_u32_e64 s10, v0
	s_cbranch_execz .LBB28_66
; %bb.65:
	global_load_b32 v2, v0, s[8:9] scale_offset
	s_wait_loadcnt 0x0
	v_mov_b32_e32 v3, v2
.LBB28_66:
	s_or_b32 exec_lo, exec_lo, s2
	v_or_b32_e32 v1, 0x100, v0
	s_delay_alu instid0(VALU_DEP_1)
	v_cmp_gt_u32_e32 vcc_lo, s10, v1
                                        ; implicit-def: $vgpr1
	s_and_saveexec_b32 s2, vcc_lo
	s_cbranch_execz .LBB28_68
; %bb.67:
	global_load_b32 v1, v0, s[8:9] offset:1024 scale_offset
.LBB28_68:
	s_wait_xcnt 0x0
	s_or_b32 exec_lo, exec_lo, s2
	v_or_b32_e32 v4, 0x200, v0
	s_delay_alu instid0(VALU_DEP_1)
	v_cmp_gt_u32_e64 s2, s10, v4
                                        ; implicit-def: $vgpr4
	s_and_saveexec_b32 s3, s2
	s_cbranch_execz .LBB28_70
; %bb.69:
	global_load_b32 v4, v0, s[8:9] offset:2048 scale_offset
.LBB28_70:
	s_wait_xcnt 0x0
	s_or_b32 exec_lo, exec_lo, s3
	v_or_b32_e32 v5, 0x300, v0
	s_delay_alu instid0(VALU_DEP_1)
	v_cmp_gt_u32_e64 s3, s10, v5
                                        ; implicit-def: $vgpr5
	s_and_saveexec_b32 s4, s3
	s_cbranch_execz .LBB28_72
; %bb.71:
	global_load_b32 v5, v0, s[8:9] offset:3072 scale_offset
.LBB28_72:
	s_wait_xcnt 0x0
	s_or_b32 exec_lo, exec_lo, s4
	v_or_b32_e32 v6, 0x400, v0
	s_delay_alu instid0(VALU_DEP_1)
	v_cmp_gt_u32_e64 s4, s10, v6
                                        ; implicit-def: $vgpr6
	s_and_saveexec_b32 s5, s4
	s_cbranch_execz .LBB28_74
; %bb.73:
	global_load_b32 v6, v0, s[8:9] offset:4096 scale_offset
.LBB28_74:
	s_wait_xcnt 0x0
	s_or_b32 exec_lo, exec_lo, s5
	v_or_b32_e32 v7, 0x500, v0
	s_delay_alu instid0(VALU_DEP_1)
	v_cmp_gt_u32_e64 s5, s10, v7
                                        ; implicit-def: $vgpr7
	s_and_saveexec_b32 s6, s5
	s_cbranch_execz .LBB28_76
; %bb.75:
	global_load_b32 v7, v0, s[8:9] offset:5120 scale_offset
.LBB28_76:
	s_wait_xcnt 0x0
	s_or_b32 exec_lo, exec_lo, s6
	v_or_b32_e32 v8, 0x600, v0
                                        ; implicit-def: $vgpr9
	s_delay_alu instid0(VALU_DEP_1)
	v_cmp_gt_u32_e64 s6, s10, v8
	s_and_saveexec_b32 s7, s6
	s_cbranch_execz .LBB28_78
; %bb.77:
	global_load_b32 v9, v0, s[8:9] offset:6144 scale_offset
.LBB28_78:
	s_wait_xcnt 0x0
	s_or_b32 exec_lo, exec_lo, s7
	v_or_b32_e32 v8, 0x700, v0
	s_delay_alu instid0(VALU_DEP_1)
	v_cmp_gt_u32_e64 s7, s10, v8
                                        ; implicit-def: $vgpr8
	s_and_saveexec_b32 s11, s7
	s_cbranch_execz .LBB28_80
; %bb.79:
	global_load_b32 v8, v0, s[8:9] offset:7168 scale_offset
.LBB28_80:
	s_wait_xcnt 0x0
	s_or_b32 exec_lo, exec_lo, s11
	s_wait_loadcnt 0x0
	v_min_i32_e32 v10, v1, v2
	v_max_i32_e32 v1, v3, v1
	s_delay_alu instid0(VALU_DEP_1) | instskip(NEXT) | instid1(VALU_DEP_1)
	v_dual_cndmask_b32 v1, v3, v1 :: v_dual_cndmask_b32 v2, v2, v10
	v_min_i32_e32 v3, v4, v2
	s_delay_alu instid0(VALU_DEP_2) | instskip(NEXT) | instid1(VALU_DEP_1)
	v_max_i32_e32 v4, v1, v4
	v_dual_cndmask_b32 v1, v1, v4, s2 :: v_dual_cndmask_b32 v2, v2, v3, s2
	s_min_u32 s2, s10, 0x100
	s_delay_alu instid0(VALU_DEP_1) | instskip(NEXT) | instid1(VALU_DEP_1)
	v_min_i32_e32 v3, v5, v2
	v_dual_cndmask_b32 v2, v2, v3, s3 :: v_dual_max_i32 v4, v1, v5
	s_delay_alu instid0(VALU_DEP_1) | instskip(SKIP_1) | instid1(VALU_DEP_2)
	v_cndmask_b32_e64 v1, v1, v4, s3
	s_mov_b32 s3, exec_lo
	v_min_i32_e32 v3, v6, v2
	s_delay_alu instid0(VALU_DEP_1) | instskip(NEXT) | instid1(VALU_DEP_1)
	v_dual_cndmask_b32 v2, v2, v3, s4 :: v_dual_max_i32 v4, v1, v6
	v_dual_cndmask_b32 v1, v1, v4, s4 :: v_dual_min_i32 v3, v7, v2
	s_delay_alu instid0(VALU_DEP_1) | instskip(NEXT) | instid1(VALU_DEP_1)
	v_max_i32_e32 v4, v1, v7
	v_dual_cndmask_b32 v2, v2, v3, s5 :: v_dual_cndmask_b32 v3, v1, v4, s5
	v_mbcnt_lo_u32_b32 v1, -1, 0
	s_delay_alu instid0(VALU_DEP_2) | instskip(NEXT) | instid1(VALU_DEP_2)
	v_min_i32_e32 v4, v9, v2
	v_cmp_ne_u32_e32 vcc_lo, 31, v1
	s_delay_alu instid0(VALU_DEP_2) | instskip(SKIP_3) | instid1(VALU_DEP_2)
	v_dual_add_nc_u32 v7, 1, v1 :: v_dual_cndmask_b32 v2, v2, v4, s6
	v_add_co_ci_u32_e64 v4, null, 0, v1, vcc_lo
	v_max_i32_e32 v5, v3, v9
	v_cmp_gt_u32_e32 vcc_lo, 30, v1
	v_dual_lshlrev_b32 v4, 2, v4 :: v_dual_cndmask_b32 v3, v3, v5, s6
	v_min_i32_e32 v5, v8, v2
	s_delay_alu instid0(VALU_DEP_1)
	v_cndmask_b32_e64 v2, v2, v5, s7
	ds_bpermute_b32 v5, v4, v2
	s_wait_dscnt 0x0
	v_min_i32_e32 v5, v5, v2
	v_max_i32_e32 v6, v3, v8
	v_cndmask_b32_e64 v8, 0, 2, vcc_lo
	s_delay_alu instid0(VALU_DEP_2) | instskip(SKIP_3) | instid1(VALU_DEP_1)
	v_cndmask_b32_e64 v3, v3, v6, s7
	v_and_b32_e32 v6, 0xe0, v0
	ds_bpermute_b32 v4, v4, v3
	v_sub_nc_u32_e64 v6, s2, v6 clamp
	v_cmp_lt_u32_e32 vcc_lo, v7, v6
	v_add_lshl_u32 v7, v8, v1, 2
	s_wait_dscnt 0x0
	v_max_i32_e32 v4, v3, v4
	s_delay_alu instid0(VALU_DEP_1)
	v_dual_cndmask_b32 v3, v3, v4 :: v_dual_cndmask_b32 v2, v2, v5
	v_cmp_gt_u32_e32 vcc_lo, 28, v1
	ds_bpermute_b32 v5, v7, v3
	ds_bpermute_b32 v4, v7, v2
	v_add_nc_u32_e32 v7, 2, v1
	v_cndmask_b32_e64 v8, 0, 4, vcc_lo
	s_delay_alu instid0(VALU_DEP_2) | instskip(NEXT) | instid1(VALU_DEP_2)
	v_cmp_lt_u32_e32 vcc_lo, v7, v6
	v_add_lshl_u32 v7, v8, v1, 2
	s_wait_dscnt 0x0
	v_min_i32_e32 v4, v4, v2
	s_delay_alu instid0(VALU_DEP_1) | instskip(NEXT) | instid1(VALU_DEP_1)
	v_dual_cndmask_b32 v2, v2, v4 :: v_dual_max_i32 v5, v3, v5
	v_cndmask_b32_e32 v3, v3, v5, vcc_lo
	v_cmp_gt_u32_e32 vcc_lo, 24, v1
	ds_bpermute_b32 v4, v7, v2
	ds_bpermute_b32 v5, v7, v3
	v_add_nc_u32_e32 v7, 4, v1
	v_cndmask_b32_e64 v8, 0, 8, vcc_lo
	s_delay_alu instid0(VALU_DEP_2) | instskip(NEXT) | instid1(VALU_DEP_2)
	v_cmp_lt_u32_e32 vcc_lo, v7, v6
	v_add_lshl_u32 v7, v8, v1, 2
	v_add_nc_u32_e32 v8, 8, v1
	s_wait_dscnt 0x0
	v_max_i32_e32 v5, v3, v5
	s_delay_alu instid0(VALU_DEP_1) | instskip(NEXT) | instid1(VALU_DEP_1)
	v_dual_cndmask_b32 v3, v3, v5 :: v_dual_min_i32 v4, v4, v2
	v_dual_cndmask_b32 v2, v2, v4, vcc_lo :: v_dual_lshlrev_b32 v4, 2, v1
	v_cmp_lt_u32_e32 vcc_lo, v8, v6
	ds_bpermute_b32 v5, v7, v2
	ds_bpermute_b32 v7, v7, v3
	s_wait_dscnt 0x0
	v_max_i32_e32 v7, v3, v7
	s_delay_alu instid0(VALU_DEP_1) | instskip(NEXT) | instid1(VALU_DEP_1)
	v_dual_cndmask_b32 v3, v3, v7, vcc_lo :: v_dual_min_i32 v5, v5, v2
	v_dual_cndmask_b32 v2, v2, v5, vcc_lo :: v_dual_bitop2_b32 v8, 64, v4 bitop3:0x54
	ds_bpermute_b32 v5, v8, v3
	ds_bpermute_b32 v7, v8, v2
	v_add_nc_u32_e32 v8, 16, v1
	s_wait_dscnt 0x1
	v_max_i32_e32 v5, v3, v5
	s_wait_dscnt 0x0
	v_min_i32_e32 v7, v7, v2
	v_cmp_lt_u32_e32 vcc_lo, v8, v6
	s_delay_alu instid0(VALU_DEP_2)
	v_dual_cndmask_b32 v2, v2, v7 :: v_dual_cndmask_b32 v3, v3, v5
	v_cmpx_eq_u32_e32 0, v1
; %bb.81:
	v_lshrrev_b32_e32 v5, 2, v0
	s_delay_alu instid0(VALU_DEP_1)
	v_and_b32_e32 v5, 56, v5
	ds_store_b64 v5, v[2:3]
; %bb.82:
	s_or_b32 exec_lo, exec_lo, s3
	s_delay_alu instid0(SALU_CYCLE_1)
	s_mov_b32 s3, exec_lo
	s_wait_dscnt 0x0
	s_barrier_signal -1
	s_barrier_wait -1
	v_cmpx_gt_u32_e32 8, v0
	s_cbranch_execz .LBB28_84
; %bb.83:
	v_dual_lshlrev_b32 v2, 3, v1 :: v_dual_bitop2_b32 v5, 7, v1 bitop3:0x40
	s_add_co_i32 s2, s2, 31
	s_delay_alu instid0(SALU_CYCLE_1)
	s_lshr_b32 s2, s2, 5
	ds_load_b64 v[2:3], v2
	v_cmp_ne_u32_e32 vcc_lo, 7, v5
	v_add_nc_u32_e32 v8, 1, v5
	v_add_co_ci_u32_e64 v6, null, 0, v1, vcc_lo
	v_cmp_gt_u32_e32 vcc_lo, 6, v5
	s_delay_alu instid0(VALU_DEP_2) | instskip(SKIP_2) | instid1(VALU_DEP_2)
	v_lshlrev_b32_e32 v6, 2, v6
	v_cndmask_b32_e64 v9, 0, 2, vcc_lo
	v_cmp_gt_u32_e32 vcc_lo, s2, v8
	v_add_lshl_u32 v1, v9, v1, 2
	s_wait_dscnt 0x0
	ds_bpermute_b32 v7, v6, v2
	ds_bpermute_b32 v6, v6, v3
	s_wait_dscnt 0x1
	v_min_i32_e32 v7, v7, v2
	s_wait_dscnt 0x0
	s_delay_alu instid0(VALU_DEP_1) | instskip(NEXT) | instid1(VALU_DEP_1)
	v_dual_cndmask_b32 v2, v2, v7, vcc_lo :: v_dual_max_i32 v6, v3, v6
	v_dual_cndmask_b32 v3, v3, v6, vcc_lo :: v_dual_add_nc_u32 v7, 2, v5
	v_add_nc_u32_e32 v5, 4, v5
	ds_bpermute_b32 v6, v1, v2
	ds_bpermute_b32 v1, v1, v3
	v_cmp_gt_u32_e32 vcc_lo, s2, v7
	s_wait_dscnt 0x0
	v_max_i32_e32 v1, v3, v1
	s_delay_alu instid0(VALU_DEP_1) | instskip(NEXT) | instid1(VALU_DEP_1)
	v_dual_cndmask_b32 v1, v3, v1 :: v_dual_min_i32 v6, v6, v2
	v_cndmask_b32_e32 v2, v2, v6, vcc_lo
	v_cmp_gt_u32_e32 vcc_lo, s2, v5
	v_or_b32_e32 v4, 16, v4
	ds_bpermute_b32 v3, v4, v1
	s_wait_dscnt 0x0
	v_max_i32_e32 v3, v1, v3
	s_delay_alu instid0(VALU_DEP_1) | instskip(SKIP_3) | instid1(VALU_DEP_1)
	v_cndmask_b32_e32 v3, v1, v3, vcc_lo
	ds_bpermute_b32 v4, v4, v2
	s_wait_dscnt 0x0
	v_min_i32_e32 v4, v4, v2
	v_cndmask_b32_e32 v2, v2, v4, vcc_lo
.LBB28_84:
	s_or_b32 exec_lo, exec_lo, s3
.LBB28_85:
	v_cmp_eq_u32_e64 s2, 0, v0
	s_branch .LBB28_94
.LBB28_86:
	s_cmp_eq_u32 s26, 4
	s_cbranch_scc0 .LBB28_93
; %bb.87:
	s_bfe_u32 s2, ttmp6, 0x4000c
	s_and_b32 s3, ttmp6, 15
	s_add_co_i32 s2, s2, 1
	s_getreg_b32 s4, hwreg(HW_REG_IB_STS2, 6, 4)
	s_mul_i32 s2, ttmp9, s2
	s_mov_b32 s21, 0
	s_add_co_i32 s3, s3, s2
	s_cmp_eq_u32 s4, 0
	s_cselect_b32 s20, ttmp9, s3
	s_mov_b32 s3, s21
	s_lshl_b32 s2, s20, 10
	s_lshr_b64 s[4:5], s[16:17], 10
	s_lshl_b64 s[6:7], s[2:3], 2
	s_cmp_lg_u64 s[4:5], s[20:21]
	s_add_nc_u64 s[4:5], s[22:23], s[6:7]
	s_cbranch_scc0 .LBB28_95
; %bb.88:
	s_clause 0x3
	global_load_b32 v1, v0, s[4:5] scale_offset
	global_load_b32 v2, v0, s[4:5] offset:1024 scale_offset
	global_load_b32 v3, v0, s[4:5] offset:2048 scale_offset
	;; [unrolled: 1-line block ×3, first 2 shown]
	s_mov_b32 s3, exec_lo
	s_wait_loadcnt 0x2
	v_min_i32_e32 v5, v2, v1
	v_max_i32_e32 v1, v1, v2
	s_wait_loadcnt 0x0
	s_delay_alu instid0(VALU_DEP_2) | instskip(SKIP_1) | instid1(VALU_DEP_3)
	v_min3_i32 v2, v4, v3, v5
	v_mov_b32_e32 v5, 0
	v_max3_i32 v1, v1, v3, v4
	s_delay_alu instid0(VALU_DEP_3) | instskip(NEXT) | instid1(VALU_DEP_2)
	v_mov_b32_dpp v3, v2 quad_perm:[1,0,3,2] row_mask:0xf bank_mask:0xf
	v_mov_b32_dpp v4, v1 quad_perm:[1,0,3,2] row_mask:0xf bank_mask:0xf
	s_delay_alu instid0(VALU_DEP_2) | instskip(NEXT) | instid1(VALU_DEP_2)
	v_min_i32_e32 v2, v2, v3
	v_max_i32_e32 v1, v4, v1
	s_delay_alu instid0(VALU_DEP_2) | instskip(NEXT) | instid1(VALU_DEP_2)
	v_mov_b32_dpp v3, v2 quad_perm:[2,3,0,1] row_mask:0xf bank_mask:0xf
	v_mov_b32_dpp v4, v1 quad_perm:[2,3,0,1] row_mask:0xf bank_mask:0xf
	s_delay_alu instid0(VALU_DEP_2) | instskip(NEXT) | instid1(VALU_DEP_2)
	v_min_i32_e32 v2, v2, v3
	v_max_i32_e32 v1, v4, v1
	s_delay_alu instid0(VALU_DEP_2) | instskip(NEXT) | instid1(VALU_DEP_2)
	v_mov_b32_dpp v3, v2 row_ror:4 row_mask:0xf bank_mask:0xf
	v_mov_b32_dpp v4, v1 row_ror:4 row_mask:0xf bank_mask:0xf
	s_delay_alu instid0(VALU_DEP_2) | instskip(NEXT) | instid1(VALU_DEP_2)
	v_min_i32_e32 v2, v2, v3
	v_max_i32_e32 v1, v4, v1
	s_delay_alu instid0(VALU_DEP_2) | instskip(NEXT) | instid1(VALU_DEP_2)
	v_mov_b32_dpp v3, v2 row_ror:8 row_mask:0xf bank_mask:0xf
	v_mov_b32_dpp v4, v1 row_ror:8 row_mask:0xf bank_mask:0xf
	s_delay_alu instid0(VALU_DEP_2) | instskip(NEXT) | instid1(VALU_DEP_2)
	v_min_i32_e32 v2, v2, v3
	v_max_i32_e32 v1, v4, v1
	ds_swizzle_b32 v3, v2 offset:swizzle(BROADCAST,32,15)
	ds_swizzle_b32 v4, v1 offset:swizzle(BROADCAST,32,15)
	s_wait_dscnt 0x1
	v_min_i32_e32 v2, v2, v3
	s_wait_dscnt 0x0
	v_max_i32_e32 v1, v4, v1
	ds_bpermute_b32 v2, v5, v2 offset:124
	ds_bpermute_b32 v3, v5, v1 offset:124
	v_mbcnt_lo_u32_b32 v1, -1, 0
	s_delay_alu instid0(VALU_DEP_1)
	v_cmpx_eq_u32_e32 0, v1
	s_cbranch_execz .LBB28_90
; %bb.89:
	v_lshrrev_b32_e32 v4, 2, v0
	s_delay_alu instid0(VALU_DEP_1)
	v_and_b32_e32 v4, 56, v4
	s_wait_dscnt 0x0
	ds_store_b64 v4, v[2:3] offset:256
.LBB28_90:
	s_or_b32 exec_lo, exec_lo, s3
	s_delay_alu instid0(SALU_CYCLE_1)
	s_mov_b32 s3, exec_lo
	s_wait_dscnt 0x0
	s_barrier_signal -1
	s_barrier_wait -1
	v_cmpx_gt_u32_e32 32, v0
	s_cbranch_execz .LBB28_92
; %bb.91:
	v_and_b32_e32 v4, 7, v1
	s_delay_alu instid0(VALU_DEP_1) | instskip(SKIP_3) | instid1(VALU_DEP_3)
	v_cmp_ne_u32_e32 vcc_lo, 7, v4
	v_add_co_ci_u32_e64 v5, null, 0, v1, vcc_lo
	v_lshlrev_b32_e32 v2, 3, v4
	v_cmp_gt_u32_e32 vcc_lo, 6, v4
	v_lshlrev_b32_e32 v5, 2, v5
	ds_load_b64 v[2:3], v2 offset:256
	v_cndmask_b32_e64 v4, 0, 2, vcc_lo
	s_delay_alu instid0(VALU_DEP_1) | instskip(SKIP_1) | instid1(VALU_DEP_1)
	v_add_lshl_u32 v4, v4, v1, 2
	v_lshlrev_b32_e32 v1, 2, v1
	v_or_b32_e32 v1, 16, v1
	s_wait_dscnt 0x0
	ds_bpermute_b32 v6, v5, v2
	ds_bpermute_b32 v5, v5, v3
	s_wait_dscnt 0x1
	v_min_i32_e32 v2, v6, v2
	s_wait_dscnt 0x0
	v_max_i32_e32 v3, v3, v5
	ds_bpermute_b32 v5, v4, v2
	ds_bpermute_b32 v4, v4, v3
	s_wait_dscnt 0x1
	v_min_i32_e32 v2, v5, v2
	s_wait_dscnt 0x0
	v_max_i32_e32 v3, v3, v4
	;; [unrolled: 6-line block ×3, first 2 shown]
.LBB28_92:
	s_or_b32 exec_lo, exec_lo, s3
	s_branch .LBB28_109
.LBB28_93:
                                        ; implicit-def: $vgpr3
                                        ; implicit-def: $sgpr20_sgpr21
.LBB28_94:
	s_branch .LBB28_140
.LBB28_95:
                                        ; implicit-def: $vgpr3
	s_cbranch_execz .LBB28_109
; %bb.96:
	s_sub_co_i32 s6, s16, s2
	s_mov_b32 s2, exec_lo
                                        ; implicit-def: $vgpr2_vgpr3
	v_cmpx_gt_u32_e64 s6, v0
	s_cbranch_execz .LBB28_98
; %bb.97:
	global_load_b32 v2, v0, s[4:5] scale_offset
	s_wait_loadcnt 0x0
	v_mov_b32_e32 v3, v2
.LBB28_98:
	s_or_b32 exec_lo, exec_lo, s2
	v_or_b32_e32 v1, 0x100, v0
	s_delay_alu instid0(VALU_DEP_1)
	v_cmp_gt_u32_e32 vcc_lo, s6, v1
                                        ; implicit-def: $vgpr1
	s_and_saveexec_b32 s2, vcc_lo
	s_cbranch_execz .LBB28_100
; %bb.99:
	global_load_b32 v1, v0, s[4:5] offset:1024 scale_offset
.LBB28_100:
	s_wait_xcnt 0x0
	s_or_b32 exec_lo, exec_lo, s2
	v_or_b32_e32 v4, 0x200, v0
                                        ; implicit-def: $vgpr5
	s_delay_alu instid0(VALU_DEP_1)
	v_cmp_gt_u32_e64 s2, s6, v4
	s_and_saveexec_b32 s3, s2
	s_cbranch_execz .LBB28_102
; %bb.101:
	global_load_b32 v5, v0, s[4:5] offset:2048 scale_offset
.LBB28_102:
	s_wait_xcnt 0x0
	s_or_b32 exec_lo, exec_lo, s3
	v_or_b32_e32 v4, 0x300, v0
	s_delay_alu instid0(VALU_DEP_1)
	v_cmp_gt_u32_e64 s3, s6, v4
                                        ; implicit-def: $vgpr4
	s_and_saveexec_b32 s7, s3
	s_cbranch_execz .LBB28_104
; %bb.103:
	global_load_b32 v4, v0, s[4:5] offset:3072 scale_offset
.LBB28_104:
	s_wait_xcnt 0x0
	s_or_b32 exec_lo, exec_lo, s7
	s_wait_loadcnt 0x0
	v_min_i32_e32 v6, v1, v2
	v_max_i32_e32 v1, v3, v1
	s_delay_alu instid0(VALU_DEP_1) | instskip(SKIP_1) | instid1(VALU_DEP_2)
	v_dual_cndmask_b32 v3, v3, v1 :: v_dual_cndmask_b32 v2, v2, v6
	v_mbcnt_lo_u32_b32 v1, -1, 0
	v_min_i32_e32 v6, v5, v2
	s_delay_alu instid0(VALU_DEP_3) | instskip(NEXT) | instid1(VALU_DEP_3)
	v_max_i32_e32 v5, v3, v5
	v_cmp_ne_u32_e32 vcc_lo, 31, v1
	v_add_nc_u32_e32 v7, 1, v1
	s_delay_alu instid0(VALU_DEP_3)
	v_dual_cndmask_b32 v3, v3, v5, s2 :: v_dual_cndmask_b32 v2, v2, v6, s2
	v_add_co_ci_u32_e64 v5, null, 0, v1, vcc_lo
	s_min_u32 s2, s6, 0x100
	v_cmp_gt_u32_e32 vcc_lo, 30, v1
	v_dual_lshlrev_b32 v5, 2, v5 :: v_dual_min_i32 v6, v4, v2
	v_max_i32_e32 v4, v3, v4
	v_cndmask_b32_e64 v8, 0, 2, vcc_lo
	s_delay_alu instid0(VALU_DEP_3) | instskip(SKIP_1) | instid1(VALU_DEP_4)
	v_cndmask_b32_e64 v2, v2, v6, s3
	v_and_b32_e32 v6, 0xe0, v0
	v_cndmask_b32_e64 v3, v3, v4, s3
	s_mov_b32 s3, exec_lo
	ds_bpermute_b32 v4, v5, v2
	v_sub_nc_u32_e64 v6, s2, v6 clamp
	ds_bpermute_b32 v5, v5, v3
	v_cmp_lt_u32_e32 vcc_lo, v7, v6
	v_add_lshl_u32 v7, v8, v1, 2
	s_wait_dscnt 0x0
	v_max_i32_e32 v5, v3, v5
	s_delay_alu instid0(VALU_DEP_1) | instskip(NEXT) | instid1(VALU_DEP_1)
	v_dual_cndmask_b32 v3, v3, v5 :: v_dual_min_i32 v4, v4, v2
	v_cndmask_b32_e32 v2, v2, v4, vcc_lo
	v_cmp_gt_u32_e32 vcc_lo, 28, v1
	ds_bpermute_b32 v5, v7, v3
	ds_bpermute_b32 v4, v7, v2
	v_add_nc_u32_e32 v7, 2, v1
	v_cndmask_b32_e64 v8, 0, 4, vcc_lo
	s_wait_dscnt 0x0
	v_min_i32_e32 v4, v4, v2
	s_delay_alu instid0(VALU_DEP_3) | instskip(SKIP_2) | instid1(VALU_DEP_4)
	v_cmp_lt_u32_e32 vcc_lo, v7, v6
	v_max_i32_e32 v5, v3, v5
	v_add_lshl_u32 v7, v8, v1, 2
	v_cndmask_b32_e32 v2, v2, v4, vcc_lo
	ds_bpermute_b32 v4, v7, v2
	v_cndmask_b32_e32 v3, v3, v5, vcc_lo
	v_cmp_gt_u32_e32 vcc_lo, 24, v1
	v_cndmask_b32_e64 v8, 0, 8, vcc_lo
	s_wait_dscnt 0x0
	v_min_i32_e32 v4, v4, v2
	ds_bpermute_b32 v5, v7, v3
	v_add_nc_u32_e32 v7, 4, v1
	s_delay_alu instid0(VALU_DEP_1)
	v_cmp_lt_u32_e32 vcc_lo, v7, v6
	v_add_lshl_u32 v7, v8, v1, 2
	v_dual_add_nc_u32 v8, 8, v1 :: v_dual_cndmask_b32 v2, v2, v4, vcc_lo
	v_lshlrev_b32_e32 v4, 2, v1
	s_wait_dscnt 0x0
	v_max_i32_e32 v5, v3, v5
	s_delay_alu instid0(VALU_DEP_1)
	v_cndmask_b32_e32 v3, v3, v5, vcc_lo
	ds_bpermute_b32 v5, v7, v2
	v_cmp_lt_u32_e32 vcc_lo, v8, v6
	s_wait_dscnt 0x0
	v_min_i32_e32 v5, v5, v2
	ds_bpermute_b32 v7, v7, v3
	v_dual_cndmask_b32 v2, v2, v5, vcc_lo :: v_dual_bitop2_b32 v8, 64, v4 bitop3:0x54
	s_wait_dscnt 0x0
	v_max_i32_e32 v7, v3, v7
	s_delay_alu instid0(VALU_DEP_1) | instskip(SKIP_4) | instid1(VALU_DEP_1)
	v_cndmask_b32_e32 v3, v3, v7, vcc_lo
	ds_bpermute_b32 v7, v8, v2
	ds_bpermute_b32 v5, v8, v3
	s_wait_dscnt 0x1
	v_dual_add_nc_u32 v8, 16, v1 :: v_dual_min_i32 v7, v7, v2
	v_cmp_lt_u32_e32 vcc_lo, v8, v6
	s_wait_dscnt 0x0
	s_delay_alu instid0(VALU_DEP_2) | instskip(NEXT) | instid1(VALU_DEP_1)
	v_dual_cndmask_b32 v2, v2, v7 :: v_dual_max_i32 v5, v3, v5
	v_cndmask_b32_e32 v3, v3, v5, vcc_lo
	v_cmpx_eq_u32_e32 0, v1
; %bb.105:
	v_lshrrev_b32_e32 v5, 2, v0
	s_delay_alu instid0(VALU_DEP_1)
	v_and_b32_e32 v5, 56, v5
	ds_store_b64 v5, v[2:3]
; %bb.106:
	s_or_b32 exec_lo, exec_lo, s3
	s_delay_alu instid0(SALU_CYCLE_1)
	s_mov_b32 s3, exec_lo
	s_wait_dscnt 0x0
	s_barrier_signal -1
	s_barrier_wait -1
	v_cmpx_gt_u32_e32 8, v0
	s_cbranch_execz .LBB28_108
; %bb.107:
	v_dual_lshlrev_b32 v2, 3, v1 :: v_dual_bitop2_b32 v5, 7, v1 bitop3:0x40
	s_add_co_i32 s2, s2, 31
	s_delay_alu instid0(SALU_CYCLE_1)
	s_lshr_b32 s2, s2, 5
	ds_load_b64 v[2:3], v2
	v_cmp_ne_u32_e32 vcc_lo, 7, v5
	v_add_nc_u32_e32 v8, 1, v5
	v_add_co_ci_u32_e64 v6, null, 0, v1, vcc_lo
	v_cmp_gt_u32_e32 vcc_lo, 6, v5
	s_delay_alu instid0(VALU_DEP_2) | instskip(SKIP_2) | instid1(VALU_DEP_2)
	v_lshlrev_b32_e32 v6, 2, v6
	v_cndmask_b32_e64 v9, 0, 2, vcc_lo
	v_cmp_gt_u32_e32 vcc_lo, s2, v8
	v_add_lshl_u32 v1, v9, v1, 2
	s_wait_dscnt 0x0
	ds_bpermute_b32 v7, v6, v2
	ds_bpermute_b32 v6, v6, v3
	s_wait_dscnt 0x1
	v_min_i32_e32 v7, v7, v2
	s_wait_dscnt 0x0
	s_delay_alu instid0(VALU_DEP_1) | instskip(NEXT) | instid1(VALU_DEP_1)
	v_dual_cndmask_b32 v2, v2, v7, vcc_lo :: v_dual_max_i32 v6, v3, v6
	v_dual_cndmask_b32 v3, v3, v6, vcc_lo :: v_dual_add_nc_u32 v7, 2, v5
	v_add_nc_u32_e32 v5, 4, v5
	ds_bpermute_b32 v6, v1, v2
	ds_bpermute_b32 v1, v1, v3
	v_cmp_gt_u32_e32 vcc_lo, s2, v7
	s_wait_dscnt 0x0
	v_max_i32_e32 v1, v3, v1
	s_delay_alu instid0(VALU_DEP_1) | instskip(NEXT) | instid1(VALU_DEP_1)
	v_dual_cndmask_b32 v1, v3, v1 :: v_dual_min_i32 v6, v6, v2
	v_cndmask_b32_e32 v2, v2, v6, vcc_lo
	v_cmp_gt_u32_e32 vcc_lo, s2, v5
	v_or_b32_e32 v4, 16, v4
	ds_bpermute_b32 v3, v4, v1
	s_wait_dscnt 0x0
	v_max_i32_e32 v3, v1, v3
	s_delay_alu instid0(VALU_DEP_1) | instskip(SKIP_3) | instid1(VALU_DEP_1)
	v_cndmask_b32_e32 v3, v1, v3, vcc_lo
	ds_bpermute_b32 v4, v4, v2
	s_wait_dscnt 0x0
	v_min_i32_e32 v4, v4, v2
	v_cndmask_b32_e32 v2, v2, v4, vcc_lo
.LBB28_108:
	s_or_b32 exec_lo, exec_lo, s3
.LBB28_109:
	v_cmp_eq_u32_e64 s2, 0, v0
	s_branch .LBB28_140
.LBB28_110:
	s_cmp_gt_i32 s26, 1
	s_cbranch_scc0 .LBB28_118
; %bb.111:
	s_cmp_eq_u32 s26, 2
	s_cbranch_scc0 .LBB28_119
; %bb.112:
	s_bfe_u32 s2, ttmp6, 0x4000c
	s_and_b32 s3, ttmp6, 15
	s_add_co_i32 s2, s2, 1
	s_getreg_b32 s4, hwreg(HW_REG_IB_STS2, 6, 4)
	s_mul_i32 s2, ttmp9, s2
	s_mov_b32 s21, 0
	s_add_co_i32 s3, s3, s2
	s_cmp_eq_u32 s4, 0
	s_mov_b32 s5, s21
	s_cselect_b32 s20, ttmp9, s3
	s_lshr_b64 s[2:3], s[16:17], 9
	s_lshl_b32 s4, s20, 9
	s_delay_alu instid0(SALU_CYCLE_1)
	s_lshl_b64 s[6:7], s[4:5], 2
	s_cmp_lg_u64 s[2:3], s[20:21]
	s_add_nc_u64 s[2:3], s[22:23], s[6:7]
	s_cbranch_scc0 .LBB28_120
; %bb.113:
	s_clause 0x1
	global_load_b32 v1, v0, s[2:3] scale_offset
	global_load_b32 v2, v0, s[2:3] offset:1024 scale_offset
	s_mov_b32 s5, exec_lo
	s_wait_loadcnt 0x0
	v_dual_mov_b32 v5, 0 :: v_dual_min_i32 v3, v2, v1
	v_max_i32_e32 v1, v1, v2
	s_delay_alu instid0(VALU_DEP_2) | instskip(NEXT) | instid1(VALU_DEP_2)
	v_mov_b32_dpp v2, v3 quad_perm:[1,0,3,2] row_mask:0xf bank_mask:0xf
	v_mov_b32_dpp v4, v1 quad_perm:[1,0,3,2] row_mask:0xf bank_mask:0xf
	s_delay_alu instid0(VALU_DEP_2) | instskip(NEXT) | instid1(VALU_DEP_2)
	v_min_i32_e32 v2, v3, v2
	v_max_i32_e32 v1, v4, v1
	s_delay_alu instid0(VALU_DEP_2) | instskip(NEXT) | instid1(VALU_DEP_2)
	v_mov_b32_dpp v3, v2 quad_perm:[2,3,0,1] row_mask:0xf bank_mask:0xf
	v_mov_b32_dpp v4, v1 quad_perm:[2,3,0,1] row_mask:0xf bank_mask:0xf
	s_delay_alu instid0(VALU_DEP_2) | instskip(NEXT) | instid1(VALU_DEP_2)
	v_min_i32_e32 v2, v2, v3
	v_max_i32_e32 v1, v4, v1
	s_delay_alu instid0(VALU_DEP_2) | instskip(NEXT) | instid1(VALU_DEP_2)
	v_mov_b32_dpp v3, v2 row_ror:4 row_mask:0xf bank_mask:0xf
	v_mov_b32_dpp v4, v1 row_ror:4 row_mask:0xf bank_mask:0xf
	s_delay_alu instid0(VALU_DEP_2) | instskip(NEXT) | instid1(VALU_DEP_2)
	v_min_i32_e32 v2, v2, v3
	v_max_i32_e32 v1, v4, v1
	s_delay_alu instid0(VALU_DEP_2) | instskip(NEXT) | instid1(VALU_DEP_2)
	v_mov_b32_dpp v3, v2 row_ror:8 row_mask:0xf bank_mask:0xf
	v_mov_b32_dpp v4, v1 row_ror:8 row_mask:0xf bank_mask:0xf
	s_delay_alu instid0(VALU_DEP_2) | instskip(NEXT) | instid1(VALU_DEP_2)
	v_min_i32_e32 v2, v2, v3
	v_max_i32_e32 v1, v4, v1
	ds_swizzle_b32 v3, v2 offset:swizzle(BROADCAST,32,15)
	ds_swizzle_b32 v4, v1 offset:swizzle(BROADCAST,32,15)
	s_wait_dscnt 0x1
	v_min_i32_e32 v2, v2, v3
	s_wait_dscnt 0x0
	v_max_i32_e32 v1, v4, v1
	ds_bpermute_b32 v2, v5, v2 offset:124
	ds_bpermute_b32 v3, v5, v1 offset:124
	v_mbcnt_lo_u32_b32 v1, -1, 0
	s_delay_alu instid0(VALU_DEP_1)
	v_cmpx_eq_u32_e32 0, v1
	s_cbranch_execz .LBB28_115
; %bb.114:
	v_lshrrev_b32_e32 v4, 2, v0
	s_delay_alu instid0(VALU_DEP_1)
	v_and_b32_e32 v4, 56, v4
	s_wait_dscnt 0x0
	ds_store_b64 v4, v[2:3] offset:192
.LBB28_115:
	s_or_b32 exec_lo, exec_lo, s5
	s_delay_alu instid0(SALU_CYCLE_1)
	s_mov_b32 s5, exec_lo
	s_wait_dscnt 0x0
	s_barrier_signal -1
	s_barrier_wait -1
	v_cmpx_gt_u32_e32 32, v0
	s_cbranch_execz .LBB28_117
; %bb.116:
	v_lshl_or_b32 v2, v1, 3, 0xc0
	v_and_b32_e32 v4, 7, v1
	ds_load_b64 v[2:3], v2
	v_cmp_ne_u32_e32 vcc_lo, 7, v4
	v_add_co_ci_u32_e64 v5, null, 0, v1, vcc_lo
	v_cmp_gt_u32_e32 vcc_lo, 6, v4
	s_delay_alu instid0(VALU_DEP_2) | instskip(SKIP_1) | instid1(VALU_DEP_1)
	v_lshlrev_b32_e32 v5, 2, v5
	v_cndmask_b32_e64 v4, 0, 2, vcc_lo
	v_add_lshl_u32 v4, v4, v1, 2
	v_lshlrev_b32_e32 v1, 2, v1
	s_wait_dscnt 0x0
	ds_bpermute_b32 v6, v5, v2
	v_or_b32_e32 v1, 16, v1
	s_wait_dscnt 0x0
	v_min_i32_e32 v2, v6, v2
	ds_bpermute_b32 v5, v5, v3
	s_wait_dscnt 0x0
	v_max_i32_e32 v3, v3, v5
	ds_bpermute_b32 v5, v4, v2
	ds_bpermute_b32 v4, v4, v3
	s_wait_dscnt 0x1
	v_min_i32_e32 v2, v5, v2
	s_wait_dscnt 0x0
	v_max_i32_e32 v3, v3, v4
	ds_bpermute_b32 v4, v1, v2
	ds_bpermute_b32 v1, v1, v3
	s_wait_dscnt 0x1
	v_min_i32_e32 v2, v4, v2
	s_wait_dscnt 0x0
	v_max_i32_e32 v3, v3, v1
.LBB28_117:
	s_or_b32 exec_lo, exec_lo, s5
	s_branch .LBB28_130
.LBB28_118:
                                        ; implicit-def: $vgpr3
                                        ; implicit-def: $sgpr20_sgpr21
	s_cbranch_execnz .LBB28_131
	s_branch .LBB28_140
.LBB28_119:
                                        ; implicit-def: $vgpr3
                                        ; implicit-def: $sgpr20_sgpr21
	s_branch .LBB28_140
.LBB28_120:
                                        ; implicit-def: $vgpr2
	s_cbranch_execz .LBB28_130
; %bb.121:
	s_sub_co_i32 s4, s16, s4
	s_mov_b32 s5, exec_lo
                                        ; implicit-def: $vgpr2_vgpr3
	v_cmpx_gt_u32_e64 s4, v0
	s_cbranch_execz .LBB28_123
; %bb.122:
	global_load_b32 v2, v0, s[2:3] scale_offset
	s_wait_loadcnt 0x0
	v_mov_b32_e32 v3, v2
.LBB28_123:
	s_or_b32 exec_lo, exec_lo, s5
	v_or_b32_e32 v1, 0x100, v0
                                        ; implicit-def: $vgpr4
	s_delay_alu instid0(VALU_DEP_1)
	v_cmp_gt_u32_e32 vcc_lo, s4, v1
	s_and_saveexec_b32 s5, vcc_lo
	s_cbranch_execz .LBB28_125
; %bb.124:
	global_load_b32 v4, v0, s[2:3] offset:1024 scale_offset
.LBB28_125:
	s_wait_xcnt 0x0
	s_or_b32 exec_lo, exec_lo, s5
	v_mbcnt_lo_u32_b32 v1, -1, 0
	s_wait_loadcnt 0x0
	v_max_i32_e32 v5, v3, v4
	v_min_i32_e32 v4, v4, v2
	s_mov_b32 s3, exec_lo
	v_cmp_ne_u32_e64 s2, 31, v1
	s_delay_alu instid0(VALU_DEP_2) | instskip(SKIP_2) | instid1(VALU_DEP_4)
	v_dual_cndmask_b32 v2, v2, v4 :: v_dual_add_nc_u32 v7, 1, v1
	v_cndmask_b32_e32 v3, v3, v5, vcc_lo
	v_cmp_gt_u32_e32 vcc_lo, 30, v1
	v_add_co_ci_u32_e64 v6, null, 0, v1, s2
	s_min_u32 s2, s4, 0x100
	v_cndmask_b32_e64 v8, 0, 2, vcc_lo
	v_lshlrev_b32_e32 v5, 2, v6
	v_and_b32_e32 v6, 0xe0, v0
	ds_bpermute_b32 v4, v5, v3
	ds_bpermute_b32 v5, v5, v2
	v_sub_nc_u32_e64 v6, s2, v6 clamp
	s_delay_alu instid0(VALU_DEP_1) | instskip(SKIP_3) | instid1(VALU_DEP_1)
	v_cmp_lt_u32_e32 vcc_lo, v7, v6
	v_add_lshl_u32 v7, v8, v1, 2
	s_wait_dscnt 0x0
	v_min_i32_e32 v5, v5, v2
	v_dual_cndmask_b32 v2, v2, v5, vcc_lo :: v_dual_max_i32 v4, v3, v4
	s_delay_alu instid0(VALU_DEP_1)
	v_cndmask_b32_e32 v3, v3, v4, vcc_lo
	v_cmp_gt_u32_e32 vcc_lo, 28, v1
	ds_bpermute_b32 v5, v7, v2
	ds_bpermute_b32 v4, v7, v3
	v_add_nc_u32_e32 v7, 2, v1
	v_cndmask_b32_e64 v8, 0, 4, vcc_lo
	s_wait_dscnt 0x0
	v_max_i32_e32 v4, v3, v4
	s_delay_alu instid0(VALU_DEP_3) | instskip(SKIP_2) | instid1(VALU_DEP_4)
	v_cmp_lt_u32_e32 vcc_lo, v7, v6
	v_min_i32_e32 v5, v5, v2
	v_add_lshl_u32 v7, v8, v1, 2
	v_cndmask_b32_e32 v3, v3, v4, vcc_lo
	ds_bpermute_b32 v4, v7, v3
	v_cndmask_b32_e32 v2, v2, v5, vcc_lo
	v_cmp_gt_u32_e32 vcc_lo, 24, v1
	v_cndmask_b32_e64 v8, 0, 8, vcc_lo
	s_wait_dscnt 0x0
	v_max_i32_e32 v4, v3, v4
	ds_bpermute_b32 v5, v7, v2
	s_wait_dscnt 0x0
	v_dual_add_nc_u32 v7, 4, v1 :: v_dual_min_i32 v5, v5, v2
	s_delay_alu instid0(VALU_DEP_1) | instskip(SKIP_2) | instid1(VALU_DEP_4)
	v_cmp_lt_u32_e32 vcc_lo, v7, v6
	v_add_lshl_u32 v7, v8, v1, 2
	v_dual_cndmask_b32 v3, v3, v4 :: v_dual_add_nc_u32 v8, 8, v1
	v_cndmask_b32_e32 v2, v2, v5, vcc_lo
	v_lshlrev_b32_e32 v4, 2, v1
	s_delay_alu instid0(VALU_DEP_3) | instskip(SKIP_4) | instid1(VALU_DEP_1)
	v_cmp_lt_u32_e32 vcc_lo, v8, v6
	ds_bpermute_b32 v5, v7, v3
	ds_bpermute_b32 v7, v7, v2
	s_wait_dscnt 0x0
	v_min_i32_e32 v7, v7, v2
	v_dual_cndmask_b32 v2, v2, v7 :: v_dual_max_i32 v5, v3, v5
	s_delay_alu instid0(VALU_DEP_1) | instskip(SKIP_3) | instid1(VALU_DEP_1)
	v_dual_cndmask_b32 v3, v3, v5, vcc_lo :: v_dual_bitop2_b32 v8, 64, v4 bitop3:0x54
	ds_bpermute_b32 v7, v8, v2
	ds_bpermute_b32 v5, v8, v3
	v_add_nc_u32_e32 v8, 16, v1
	v_cmp_lt_u32_e32 vcc_lo, v8, v6
	s_wait_dscnt 0x1
	v_min_i32_e32 v7, v7, v2
	s_wait_dscnt 0x0
	s_delay_alu instid0(VALU_DEP_1) | instskip(NEXT) | instid1(VALU_DEP_1)
	v_dual_cndmask_b32 v2, v2, v7 :: v_dual_max_i32 v5, v3, v5
	v_cndmask_b32_e32 v3, v3, v5, vcc_lo
	v_cmpx_eq_u32_e32 0, v1
; %bb.126:
	v_lshrrev_b32_e32 v5, 2, v0
	s_delay_alu instid0(VALU_DEP_1)
	v_and_b32_e32 v5, 56, v5
	ds_store_b64 v5, v[2:3]
; %bb.127:
	s_or_b32 exec_lo, exec_lo, s3
	s_delay_alu instid0(SALU_CYCLE_1)
	s_mov_b32 s3, exec_lo
	s_wait_dscnt 0x0
	s_barrier_signal -1
	s_barrier_wait -1
	v_cmpx_gt_u32_e32 8, v0
	s_cbranch_execz .LBB28_129
; %bb.128:
	v_dual_lshlrev_b32 v2, 3, v1 :: v_dual_bitop2_b32 v5, 7, v1 bitop3:0x40
	s_add_co_i32 s2, s2, 31
	s_delay_alu instid0(SALU_CYCLE_1)
	s_lshr_b32 s2, s2, 5
	ds_load_b64 v[2:3], v2
	v_cmp_ne_u32_e32 vcc_lo, 7, v5
	v_add_nc_u32_e32 v8, 1, v5
	v_add_co_ci_u32_e64 v6, null, 0, v1, vcc_lo
	v_cmp_gt_u32_e32 vcc_lo, 6, v5
	s_delay_alu instid0(VALU_DEP_2) | instskip(SKIP_2) | instid1(VALU_DEP_2)
	v_lshlrev_b32_e32 v6, 2, v6
	v_cndmask_b32_e64 v9, 0, 2, vcc_lo
	v_cmp_gt_u32_e32 vcc_lo, s2, v8
	v_add_lshl_u32 v1, v9, v1, 2
	s_wait_dscnt 0x0
	ds_bpermute_b32 v7, v6, v3
	ds_bpermute_b32 v6, v6, v2
	s_wait_dscnt 0x0
	v_min_i32_e32 v6, v6, v2
	s_delay_alu instid0(VALU_DEP_1) | instskip(NEXT) | instid1(VALU_DEP_1)
	v_dual_cndmask_b32 v2, v2, v6 :: v_dual_max_i32 v7, v3, v7
	v_cndmask_b32_e32 v3, v3, v7, vcc_lo
	ds_bpermute_b32 v6, v1, v3
	ds_bpermute_b32 v1, v1, v2
	v_dual_add_nc_u32 v7, 2, v5 :: v_dual_add_nc_u32 v5, 4, v5
	s_wait_dscnt 0x1
	v_max_i32_e32 v6, v3, v6
	s_delay_alu instid0(VALU_DEP_2) | instskip(SKIP_2) | instid1(VALU_DEP_3)
	v_cmp_gt_u32_e32 vcc_lo, s2, v7
	s_wait_dscnt 0x0
	v_min_i32_e32 v1, v1, v2
	v_dual_cndmask_b32 v3, v3, v6, vcc_lo :: v_dual_bitop2_b32 v4, 16, v4 bitop3:0x54
	s_delay_alu instid0(VALU_DEP_2)
	v_cndmask_b32_e32 v1, v2, v1, vcc_lo
	v_cmp_gt_u32_e32 vcc_lo, s2, v5
	ds_bpermute_b32 v2, v4, v3
	s_wait_dscnt 0x0
	v_max_i32_e32 v2, v3, v2
	ds_bpermute_b32 v4, v4, v1
	s_wait_dscnt 0x0
	v_dual_cndmask_b32 v3, v3, v2 :: v_dual_min_i32 v4, v4, v1
	s_delay_alu instid0(VALU_DEP_1)
	v_cndmask_b32_e32 v2, v1, v4, vcc_lo
.LBB28_129:
	s_or_b32 exec_lo, exec_lo, s3
.LBB28_130:
	v_cmp_eq_u32_e64 s2, 0, v0
	s_branch .LBB28_140
.LBB28_131:
	s_cmp_eq_u32 s26, 1
	s_cbranch_scc0 .LBB28_139
; %bb.132:
	s_bfe_u32 s2, ttmp6, 0x4000c
	s_and_b32 s4, ttmp6, 15
	s_add_co_i32 s2, s2, 1
	s_getreg_b32 s5, hwreg(HW_REG_IB_STS2, 6, 4)
	s_mul_i32 s2, ttmp9, s2
	s_mov_b32 s3, 0
	s_add_co_i32 s4, s4, s2
	s_cmp_eq_u32 s5, 0
	v_mbcnt_lo_u32_b32 v1, -1, 0
	s_cselect_b32 s20, ttmp9, s4
	s_mov_b32 s21, s3
	s_lshr_b64 s[4:5], s[16:17], 8
	s_lshl_b32 s2, s20, 8
	s_cmp_lg_u64 s[4:5], s[20:21]
	s_cbranch_scc0 .LBB28_143
; %bb.133:
	s_lshl_b64 s[4:5], s[2:3], 2
	v_mov_b32_e32 v6, 0
	s_add_nc_u64 s[4:5], s[22:23], s[4:5]
	global_load_b32 v2, v0, s[4:5] scale_offset
	s_wait_xcnt 0x0
	s_mov_b32 s4, exec_lo
	s_wait_loadcnt 0x0
	v_mov_b32_dpp v3, v2 quad_perm:[1,0,3,2] row_mask:0xf bank_mask:0xf
	s_delay_alu instid0(VALU_DEP_1) | instskip(SKIP_1) | instid1(VALU_DEP_2)
	v_min_i32_e32 v4, v2, v3
	v_max_i32_e32 v2, v3, v2
	v_mov_b32_dpp v3, v4 quad_perm:[2,3,0,1] row_mask:0xf bank_mask:0xf
	s_delay_alu instid0(VALU_DEP_2) | instskip(NEXT) | instid1(VALU_DEP_2)
	v_mov_b32_dpp v5, v2 quad_perm:[2,3,0,1] row_mask:0xf bank_mask:0xf
	v_min_i32_e32 v3, v4, v3
	s_delay_alu instid0(VALU_DEP_2) | instskip(NEXT) | instid1(VALU_DEP_2)
	v_max_i32_e32 v2, v5, v2
	v_mov_b32_dpp v4, v3 row_ror:4 row_mask:0xf bank_mask:0xf
	s_delay_alu instid0(VALU_DEP_2) | instskip(NEXT) | instid1(VALU_DEP_2)
	v_mov_b32_dpp v5, v2 row_ror:4 row_mask:0xf bank_mask:0xf
	v_min_i32_e32 v3, v3, v4
	s_delay_alu instid0(VALU_DEP_2) | instskip(NEXT) | instid1(VALU_DEP_2)
	v_max_i32_e32 v2, v5, v2
	v_mov_b32_dpp v4, v3 row_ror:8 row_mask:0xf bank_mask:0xf
	s_delay_alu instid0(VALU_DEP_2) | instskip(NEXT) | instid1(VALU_DEP_2)
	v_mov_b32_dpp v5, v2 row_ror:8 row_mask:0xf bank_mask:0xf
	v_min_i32_e32 v3, v3, v4
	s_delay_alu instid0(VALU_DEP_2)
	v_max_i32_e32 v2, v5, v2
	ds_swizzle_b32 v4, v3 offset:swizzle(BROADCAST,32,15)
	ds_swizzle_b32 v5, v2 offset:swizzle(BROADCAST,32,15)
	s_wait_dscnt 0x1
	v_min_i32_e32 v3, v3, v4
	s_wait_dscnt 0x0
	v_max_i32_e32 v4, v5, v2
	ds_bpermute_b32 v2, v6, v3 offset:124
	ds_bpermute_b32 v3, v6, v4 offset:124
	v_cmpx_eq_u32_e32 0, v1
	s_cbranch_execz .LBB28_135
; %bb.134:
	v_lshrrev_b32_e32 v4, 2, v0
	s_delay_alu instid0(VALU_DEP_1)
	v_and_b32_e32 v4, 56, v4
	s_wait_dscnt 0x0
	ds_store_b64 v4, v[2:3] offset:128
.LBB28_135:
	s_or_b32 exec_lo, exec_lo, s4
	s_delay_alu instid0(SALU_CYCLE_1)
	s_mov_b32 s4, exec_lo
	s_wait_dscnt 0x0
	s_barrier_signal -1
	s_barrier_wait -1
	v_cmpx_gt_u32_e32 32, v0
	s_cbranch_execz .LBB28_137
; %bb.136:
	v_and_b32_e32 v4, 7, v1
	s_delay_alu instid0(VALU_DEP_1) | instskip(SKIP_1) | instid1(VALU_DEP_1)
	v_cmp_ne_u32_e32 vcc_lo, 7, v4
	v_add_co_ci_u32_e64 v5, null, 0, v1, vcc_lo
	v_dual_lshlrev_b32 v2, 3, v4 :: v_dual_lshlrev_b32 v5, 2, v5
	ds_load_b64 v[2:3], v2 offset:128
	s_wait_dscnt 0x0
	ds_bpermute_b32 v6, v5, v2
	ds_bpermute_b32 v5, v5, v3
	s_wait_dscnt 0x1
	v_dual_lshlrev_b32 v6, 2, v1 :: v_dual_min_i32 v2, v6, v2
	v_cmp_gt_u32_e32 vcc_lo, 6, v4
	s_wait_dscnt 0x0
	v_max_i32_e32 v3, v3, v5
	s_delay_alu instid0(VALU_DEP_3) | instskip(SKIP_1) | instid1(VALU_DEP_1)
	v_or_b32_e32 v6, 16, v6
	v_cndmask_b32_e64 v4, 0, 2, vcc_lo
	v_add_lshl_u32 v4, v4, v1, 2
	ds_bpermute_b32 v5, v4, v2
	ds_bpermute_b32 v4, v4, v3
	s_wait_dscnt 0x1
	v_min_i32_e32 v2, v5, v2
	s_wait_dscnt 0x0
	v_max_i32_e32 v3, v3, v4
	ds_bpermute_b32 v4, v6, v2
	ds_bpermute_b32 v5, v6, v3
	s_wait_dscnt 0x1
	v_min_i32_e32 v2, v4, v2
	s_wait_dscnt 0x0
	v_max_i32_e32 v3, v3, v5
.LBB28_137:
	s_or_b32 exec_lo, exec_lo, s4
.LBB28_138:
	v_cmp_eq_u32_e64 s2, 0, v0
	s_and_saveexec_b32 s3, s2
	s_cbranch_execnz .LBB28_141
	s_branch .LBB28_142
.LBB28_139:
                                        ; implicit-def: $vgpr3
                                        ; implicit-def: $sgpr20_sgpr21
.LBB28_140:
	s_delay_alu instid0(VALU_DEP_1)
	s_and_saveexec_b32 s3, s2
	s_cbranch_execz .LBB28_142
.LBB28_141:
	s_load_b64 s[0:1], s[0:1], 0x28
	s_lshl_b64 s[2:3], s[20:21], 3
	s_cmp_eq_u64 s[16:17], 0
	s_cselect_b32 s4, -1, 0
	s_wait_kmcnt 0x0
	v_dual_mov_b32 v2, 0 :: v_dual_min_i32 v0, s0, v2
	v_max_i32_e32 v1, s1, v3
	s_delay_alu instid0(VALU_DEP_2) | instskip(NEXT) | instid1(VALU_DEP_2)
	v_cndmask_b32_e64 v0, v0, s0, s4
	v_cndmask_b32_e64 v1, v1, s1, s4
	s_add_nc_u64 s[0:1], s[18:19], s[2:3]
	global_store_b64 v2, v[0:1], s[0:1]
.LBB28_142:
	s_endpgm
.LBB28_143:
                                        ; implicit-def: $vgpr2
	s_cbranch_execz .LBB28_138
; %bb.144:
	v_mov_b32_e32 v2, 0
	s_sub_co_i32 s4, s16, s2
	s_mov_b32 s5, exec_lo
	v_cmpx_gt_u32_e64 s4, v0
	s_cbranch_execz .LBB28_146
; %bb.145:
	s_lshl_b64 s[2:3], s[2:3], 2
	s_delay_alu instid0(SALU_CYCLE_1)
	s_add_nc_u64 s[2:3], s[22:23], s[2:3]
	global_load_b32 v2, v0, s[2:3] scale_offset
.LBB28_146:
	s_wait_xcnt 0x0
	s_or_b32 exec_lo, exec_lo, s5
	v_cmp_ne_u32_e32 vcc_lo, 31, v1
	v_and_b32_e32 v4, 0xe0, v0
	s_min_u32 s2, s4, 0x100
	s_mov_b32 s3, exec_lo
	v_add_nc_u32_e32 v5, 1, v1
	v_add_co_ci_u32_e64 v3, null, 0, v1, vcc_lo
	v_sub_nc_u32_e64 v6, s2, v4 clamp
	v_cmp_gt_u32_e32 vcc_lo, 30, v1
	s_delay_alu instid0(VALU_DEP_3) | instskip(SKIP_1) | instid1(VALU_DEP_4)
	v_lshlrev_b32_e32 v3, 2, v3
	v_cndmask_b32_e64 v4, 0, 2, vcc_lo
	v_cmp_lt_u32_e32 vcc_lo, v5, v6
	s_wait_loadcnt 0x0
	ds_bpermute_b32 v3, v3, v2
	v_add_lshl_u32 v4, v4, v1, 2
	s_wait_dscnt 0x0
	v_max_i32_e32 v7, v2, v3
	s_delay_alu instid0(VALU_DEP_1) | instskip(NEXT) | instid1(VALU_DEP_1)
	v_dual_cndmask_b32 v5, v2, v7, vcc_lo :: v_dual_min_i32 v3, v3, v2
	v_cndmask_b32_e32 v2, v2, v3, vcc_lo
	v_cmp_gt_u32_e32 vcc_lo, 28, v1
	ds_bpermute_b32 v3, v4, v5
	ds_bpermute_b32 v4, v4, v2
	v_add_nc_u32_e32 v7, 2, v1
	v_cndmask_b32_e64 v8, 0, 4, vcc_lo
	s_wait_dscnt 0x1
	v_max_i32_e32 v3, v5, v3
	s_delay_alu instid0(VALU_DEP_3) | instskip(SKIP_3) | instid1(VALU_DEP_2)
	v_cmp_lt_u32_e32 vcc_lo, v7, v6
	s_wait_dscnt 0x0
	v_min_i32_e32 v4, v4, v2
	v_add_lshl_u32 v7, v8, v1, 2
	v_dual_cndmask_b32 v3, v5, v3 :: v_dual_cndmask_b32 v2, v2, v4
	v_cmp_gt_u32_e32 vcc_lo, 24, v1
	ds_bpermute_b32 v4, v7, v3
	ds_bpermute_b32 v5, v7, v2
	v_add_nc_u32_e32 v7, 4, v1
	v_cndmask_b32_e64 v8, 0, 8, vcc_lo
	s_delay_alu instid0(VALU_DEP_2) | instskip(NEXT) | instid1(VALU_DEP_2)
	v_cmp_lt_u32_e32 vcc_lo, v7, v6
	v_add_lshl_u32 v7, v8, v1, 2
	s_wait_dscnt 0x0
	v_dual_add_nc_u32 v8, 8, v1 :: v_dual_min_i32 v5, v5, v2
	s_delay_alu instid0(VALU_DEP_1) | instskip(NEXT) | instid1(VALU_DEP_1)
	v_dual_cndmask_b32 v2, v2, v5, vcc_lo :: v_dual_max_i32 v4, v3, v4
	v_dual_cndmask_b32 v3, v3, v4 :: v_dual_lshlrev_b32 v4, 2, v1
	s_delay_alu instid0(VALU_DEP_3) | instskip(SKIP_4) | instid1(VALU_DEP_1)
	v_cmp_lt_u32_e32 vcc_lo, v8, v6
	ds_bpermute_b32 v5, v7, v3
	ds_bpermute_b32 v7, v7, v2
	s_wait_dscnt 0x0
	v_min_i32_e32 v7, v7, v2
	v_dual_cndmask_b32 v2, v2, v7 :: v_dual_max_i32 v5, v3, v5
	s_delay_alu instid0(VALU_DEP_1) | instskip(SKIP_3) | instid1(VALU_DEP_1)
	v_dual_cndmask_b32 v3, v3, v5, vcc_lo :: v_dual_bitop2_b32 v8, 64, v4 bitop3:0x54
	ds_bpermute_b32 v7, v8, v2
	ds_bpermute_b32 v5, v8, v3
	v_add_nc_u32_e32 v8, 16, v1
	v_cmp_lt_u32_e32 vcc_lo, v8, v6
	s_wait_dscnt 0x1
	v_min_i32_e32 v7, v7, v2
	s_wait_dscnt 0x0
	s_delay_alu instid0(VALU_DEP_1) | instskip(NEXT) | instid1(VALU_DEP_1)
	v_dual_cndmask_b32 v2, v2, v7 :: v_dual_max_i32 v5, v3, v5
	v_cndmask_b32_e32 v3, v3, v5, vcc_lo
	v_cmpx_eq_u32_e32 0, v1
; %bb.147:
	v_lshrrev_b32_e32 v5, 2, v0
	s_delay_alu instid0(VALU_DEP_1)
	v_and_b32_e32 v5, 56, v5
	ds_store_b64 v5, v[2:3]
; %bb.148:
	s_or_b32 exec_lo, exec_lo, s3
	s_delay_alu instid0(SALU_CYCLE_1)
	s_mov_b32 s3, exec_lo
	s_wait_dscnt 0x0
	s_barrier_signal -1
	s_barrier_wait -1
	v_cmpx_gt_u32_e32 8, v0
	s_cbranch_execz .LBB28_150
; %bb.149:
	v_dual_lshlrev_b32 v2, 3, v1 :: v_dual_bitop2_b32 v5, 7, v1 bitop3:0x40
	s_add_co_i32 s2, s2, 31
	s_delay_alu instid0(SALU_CYCLE_1)
	s_lshr_b32 s2, s2, 5
	ds_load_b64 v[2:3], v2
	v_cmp_ne_u32_e32 vcc_lo, 7, v5
	v_add_nc_u32_e32 v8, 1, v5
	v_add_co_ci_u32_e64 v6, null, 0, v1, vcc_lo
	v_cmp_gt_u32_e32 vcc_lo, 6, v5
	s_delay_alu instid0(VALU_DEP_2) | instskip(SKIP_2) | instid1(VALU_DEP_2)
	v_lshlrev_b32_e32 v6, 2, v6
	v_cndmask_b32_e64 v9, 0, 2, vcc_lo
	v_cmp_gt_u32_e32 vcc_lo, s2, v8
	v_add_lshl_u32 v1, v9, v1, 2
	s_wait_dscnt 0x0
	ds_bpermute_b32 v7, v6, v3
	ds_bpermute_b32 v6, v6, v2
	s_wait_dscnt 0x0
	v_min_i32_e32 v6, v6, v2
	s_delay_alu instid0(VALU_DEP_1) | instskip(NEXT) | instid1(VALU_DEP_1)
	v_dual_cndmask_b32 v2, v2, v6 :: v_dual_max_i32 v7, v3, v7
	v_cndmask_b32_e32 v3, v3, v7, vcc_lo
	ds_bpermute_b32 v6, v1, v3
	ds_bpermute_b32 v1, v1, v2
	v_dual_add_nc_u32 v7, 2, v5 :: v_dual_add_nc_u32 v5, 4, v5
	s_wait_dscnt 0x1
	v_max_i32_e32 v6, v3, v6
	s_delay_alu instid0(VALU_DEP_2) | instskip(SKIP_2) | instid1(VALU_DEP_3)
	v_cmp_gt_u32_e32 vcc_lo, s2, v7
	s_wait_dscnt 0x0
	v_min_i32_e32 v1, v1, v2
	v_dual_cndmask_b32 v3, v3, v6, vcc_lo :: v_dual_bitop2_b32 v4, 16, v4 bitop3:0x54
	s_delay_alu instid0(VALU_DEP_2)
	v_cndmask_b32_e32 v1, v2, v1, vcc_lo
	v_cmp_gt_u32_e32 vcc_lo, s2, v5
	ds_bpermute_b32 v2, v4, v3
	s_wait_dscnt 0x0
	v_max_i32_e32 v2, v3, v2
	ds_bpermute_b32 v4, v4, v1
	s_wait_dscnt 0x0
	v_dual_cndmask_b32 v3, v3, v2 :: v_dual_min_i32 v4, v4, v1
	s_delay_alu instid0(VALU_DEP_1)
	v_cndmask_b32_e32 v2, v1, v4, vcc_lo
.LBB28_150:
	s_or_b32 exec_lo, exec_lo, s3
	v_cmp_eq_u32_e64 s2, 0, v0
	s_and_saveexec_b32 s3, s2
	s_cbranch_execnz .LBB28_141
	s_branch .LBB28_142
	.section	.rodata,"a",@progbits
	.p2align	6, 0x0
	.amdhsa_kernel _ZN7rocprim17ROCPRIM_400000_NS6detail17trampoline_kernelINS0_14default_configENS1_22reduce_config_selectorI11minmax_pairIiEEEZNS1_11reduce_implILb1ES3_N6thrust23THRUST_200600_302600_NS11hip_rocprim26transform_input_iterator_tIS6_NSA_6detail15normal_iteratorINSA_10device_ptrIiEEEE15minmax_unary_opIiEEEPS6_S6_16minmax_binary_opIiEEE10hipError_tPvRmT1_T2_T3_mT4_P12ihipStream_tbEUlT_E1_NS1_11comp_targetILNS1_3genE0ELNS1_11target_archE4294967295ELNS1_3gpuE0ELNS1_3repE0EEENS1_30default_config_static_selectorELNS0_4arch9wavefront6targetE0EEEvSR_
		.amdhsa_group_segment_fixed_size 384
		.amdhsa_private_segment_fixed_size 0
		.amdhsa_kernarg_size 56
		.amdhsa_user_sgpr_count 2
		.amdhsa_user_sgpr_dispatch_ptr 0
		.amdhsa_user_sgpr_queue_ptr 0
		.amdhsa_user_sgpr_kernarg_segment_ptr 1
		.amdhsa_user_sgpr_dispatch_id 0
		.amdhsa_user_sgpr_kernarg_preload_length 0
		.amdhsa_user_sgpr_kernarg_preload_offset 0
		.amdhsa_user_sgpr_private_segment_size 0
		.amdhsa_wavefront_size32 1
		.amdhsa_uses_dynamic_stack 0
		.amdhsa_enable_private_segment 0
		.amdhsa_system_sgpr_workgroup_id_x 1
		.amdhsa_system_sgpr_workgroup_id_y 0
		.amdhsa_system_sgpr_workgroup_id_z 0
		.amdhsa_system_sgpr_workgroup_info 0
		.amdhsa_system_vgpr_workitem_id 0
		.amdhsa_next_free_vgpr 19
		.amdhsa_next_free_sgpr 30
		.amdhsa_named_barrier_count 0
		.amdhsa_reserve_vcc 1
		.amdhsa_float_round_mode_32 0
		.amdhsa_float_round_mode_16_64 0
		.amdhsa_float_denorm_mode_32 3
		.amdhsa_float_denorm_mode_16_64 3
		.amdhsa_fp16_overflow 0
		.amdhsa_memory_ordered 1
		.amdhsa_forward_progress 1
		.amdhsa_inst_pref_size 73
		.amdhsa_round_robin_scheduling 0
		.amdhsa_exception_fp_ieee_invalid_op 0
		.amdhsa_exception_fp_denorm_src 0
		.amdhsa_exception_fp_ieee_div_zero 0
		.amdhsa_exception_fp_ieee_overflow 0
		.amdhsa_exception_fp_ieee_underflow 0
		.amdhsa_exception_fp_ieee_inexact 0
		.amdhsa_exception_int_div_zero 0
	.end_amdhsa_kernel
	.section	.text._ZN7rocprim17ROCPRIM_400000_NS6detail17trampoline_kernelINS0_14default_configENS1_22reduce_config_selectorI11minmax_pairIiEEEZNS1_11reduce_implILb1ES3_N6thrust23THRUST_200600_302600_NS11hip_rocprim26transform_input_iterator_tIS6_NSA_6detail15normal_iteratorINSA_10device_ptrIiEEEE15minmax_unary_opIiEEEPS6_S6_16minmax_binary_opIiEEE10hipError_tPvRmT1_T2_T3_mT4_P12ihipStream_tbEUlT_E1_NS1_11comp_targetILNS1_3genE0ELNS1_11target_archE4294967295ELNS1_3gpuE0ELNS1_3repE0EEENS1_30default_config_static_selectorELNS0_4arch9wavefront6targetE0EEEvSR_,"axG",@progbits,_ZN7rocprim17ROCPRIM_400000_NS6detail17trampoline_kernelINS0_14default_configENS1_22reduce_config_selectorI11minmax_pairIiEEEZNS1_11reduce_implILb1ES3_N6thrust23THRUST_200600_302600_NS11hip_rocprim26transform_input_iterator_tIS6_NSA_6detail15normal_iteratorINSA_10device_ptrIiEEEE15minmax_unary_opIiEEEPS6_S6_16minmax_binary_opIiEEE10hipError_tPvRmT1_T2_T3_mT4_P12ihipStream_tbEUlT_E1_NS1_11comp_targetILNS1_3genE0ELNS1_11target_archE4294967295ELNS1_3gpuE0ELNS1_3repE0EEENS1_30default_config_static_selectorELNS0_4arch9wavefront6targetE0EEEvSR_,comdat
.Lfunc_end28:
	.size	_ZN7rocprim17ROCPRIM_400000_NS6detail17trampoline_kernelINS0_14default_configENS1_22reduce_config_selectorI11minmax_pairIiEEEZNS1_11reduce_implILb1ES3_N6thrust23THRUST_200600_302600_NS11hip_rocprim26transform_input_iterator_tIS6_NSA_6detail15normal_iteratorINSA_10device_ptrIiEEEE15minmax_unary_opIiEEEPS6_S6_16minmax_binary_opIiEEE10hipError_tPvRmT1_T2_T3_mT4_P12ihipStream_tbEUlT_E1_NS1_11comp_targetILNS1_3genE0ELNS1_11target_archE4294967295ELNS1_3gpuE0ELNS1_3repE0EEENS1_30default_config_static_selectorELNS0_4arch9wavefront6targetE0EEEvSR_, .Lfunc_end28-_ZN7rocprim17ROCPRIM_400000_NS6detail17trampoline_kernelINS0_14default_configENS1_22reduce_config_selectorI11minmax_pairIiEEEZNS1_11reduce_implILb1ES3_N6thrust23THRUST_200600_302600_NS11hip_rocprim26transform_input_iterator_tIS6_NSA_6detail15normal_iteratorINSA_10device_ptrIiEEEE15minmax_unary_opIiEEEPS6_S6_16minmax_binary_opIiEEE10hipError_tPvRmT1_T2_T3_mT4_P12ihipStream_tbEUlT_E1_NS1_11comp_targetILNS1_3genE0ELNS1_11target_archE4294967295ELNS1_3gpuE0ELNS1_3repE0EEENS1_30default_config_static_selectorELNS0_4arch9wavefront6targetE0EEEvSR_
                                        ; -- End function
	.set _ZN7rocprim17ROCPRIM_400000_NS6detail17trampoline_kernelINS0_14default_configENS1_22reduce_config_selectorI11minmax_pairIiEEEZNS1_11reduce_implILb1ES3_N6thrust23THRUST_200600_302600_NS11hip_rocprim26transform_input_iterator_tIS6_NSA_6detail15normal_iteratorINSA_10device_ptrIiEEEE15minmax_unary_opIiEEEPS6_S6_16minmax_binary_opIiEEE10hipError_tPvRmT1_T2_T3_mT4_P12ihipStream_tbEUlT_E1_NS1_11comp_targetILNS1_3genE0ELNS1_11target_archE4294967295ELNS1_3gpuE0ELNS1_3repE0EEENS1_30default_config_static_selectorELNS0_4arch9wavefront6targetE0EEEvSR_.num_vgpr, 19
	.set _ZN7rocprim17ROCPRIM_400000_NS6detail17trampoline_kernelINS0_14default_configENS1_22reduce_config_selectorI11minmax_pairIiEEEZNS1_11reduce_implILb1ES3_N6thrust23THRUST_200600_302600_NS11hip_rocprim26transform_input_iterator_tIS6_NSA_6detail15normal_iteratorINSA_10device_ptrIiEEEE15minmax_unary_opIiEEEPS6_S6_16minmax_binary_opIiEEE10hipError_tPvRmT1_T2_T3_mT4_P12ihipStream_tbEUlT_E1_NS1_11comp_targetILNS1_3genE0ELNS1_11target_archE4294967295ELNS1_3gpuE0ELNS1_3repE0EEENS1_30default_config_static_selectorELNS0_4arch9wavefront6targetE0EEEvSR_.num_agpr, 0
	.set _ZN7rocprim17ROCPRIM_400000_NS6detail17trampoline_kernelINS0_14default_configENS1_22reduce_config_selectorI11minmax_pairIiEEEZNS1_11reduce_implILb1ES3_N6thrust23THRUST_200600_302600_NS11hip_rocprim26transform_input_iterator_tIS6_NSA_6detail15normal_iteratorINSA_10device_ptrIiEEEE15minmax_unary_opIiEEEPS6_S6_16minmax_binary_opIiEEE10hipError_tPvRmT1_T2_T3_mT4_P12ihipStream_tbEUlT_E1_NS1_11comp_targetILNS1_3genE0ELNS1_11target_archE4294967295ELNS1_3gpuE0ELNS1_3repE0EEENS1_30default_config_static_selectorELNS0_4arch9wavefront6targetE0EEEvSR_.numbered_sgpr, 30
	.set _ZN7rocprim17ROCPRIM_400000_NS6detail17trampoline_kernelINS0_14default_configENS1_22reduce_config_selectorI11minmax_pairIiEEEZNS1_11reduce_implILb1ES3_N6thrust23THRUST_200600_302600_NS11hip_rocprim26transform_input_iterator_tIS6_NSA_6detail15normal_iteratorINSA_10device_ptrIiEEEE15minmax_unary_opIiEEEPS6_S6_16minmax_binary_opIiEEE10hipError_tPvRmT1_T2_T3_mT4_P12ihipStream_tbEUlT_E1_NS1_11comp_targetILNS1_3genE0ELNS1_11target_archE4294967295ELNS1_3gpuE0ELNS1_3repE0EEENS1_30default_config_static_selectorELNS0_4arch9wavefront6targetE0EEEvSR_.num_named_barrier, 0
	.set _ZN7rocprim17ROCPRIM_400000_NS6detail17trampoline_kernelINS0_14default_configENS1_22reduce_config_selectorI11minmax_pairIiEEEZNS1_11reduce_implILb1ES3_N6thrust23THRUST_200600_302600_NS11hip_rocprim26transform_input_iterator_tIS6_NSA_6detail15normal_iteratorINSA_10device_ptrIiEEEE15minmax_unary_opIiEEEPS6_S6_16minmax_binary_opIiEEE10hipError_tPvRmT1_T2_T3_mT4_P12ihipStream_tbEUlT_E1_NS1_11comp_targetILNS1_3genE0ELNS1_11target_archE4294967295ELNS1_3gpuE0ELNS1_3repE0EEENS1_30default_config_static_selectorELNS0_4arch9wavefront6targetE0EEEvSR_.private_seg_size, 0
	.set _ZN7rocprim17ROCPRIM_400000_NS6detail17trampoline_kernelINS0_14default_configENS1_22reduce_config_selectorI11minmax_pairIiEEEZNS1_11reduce_implILb1ES3_N6thrust23THRUST_200600_302600_NS11hip_rocprim26transform_input_iterator_tIS6_NSA_6detail15normal_iteratorINSA_10device_ptrIiEEEE15minmax_unary_opIiEEEPS6_S6_16minmax_binary_opIiEEE10hipError_tPvRmT1_T2_T3_mT4_P12ihipStream_tbEUlT_E1_NS1_11comp_targetILNS1_3genE0ELNS1_11target_archE4294967295ELNS1_3gpuE0ELNS1_3repE0EEENS1_30default_config_static_selectorELNS0_4arch9wavefront6targetE0EEEvSR_.uses_vcc, 1
	.set _ZN7rocprim17ROCPRIM_400000_NS6detail17trampoline_kernelINS0_14default_configENS1_22reduce_config_selectorI11minmax_pairIiEEEZNS1_11reduce_implILb1ES3_N6thrust23THRUST_200600_302600_NS11hip_rocprim26transform_input_iterator_tIS6_NSA_6detail15normal_iteratorINSA_10device_ptrIiEEEE15minmax_unary_opIiEEEPS6_S6_16minmax_binary_opIiEEE10hipError_tPvRmT1_T2_T3_mT4_P12ihipStream_tbEUlT_E1_NS1_11comp_targetILNS1_3genE0ELNS1_11target_archE4294967295ELNS1_3gpuE0ELNS1_3repE0EEENS1_30default_config_static_selectorELNS0_4arch9wavefront6targetE0EEEvSR_.uses_flat_scratch, 0
	.set _ZN7rocprim17ROCPRIM_400000_NS6detail17trampoline_kernelINS0_14default_configENS1_22reduce_config_selectorI11minmax_pairIiEEEZNS1_11reduce_implILb1ES3_N6thrust23THRUST_200600_302600_NS11hip_rocprim26transform_input_iterator_tIS6_NSA_6detail15normal_iteratorINSA_10device_ptrIiEEEE15minmax_unary_opIiEEEPS6_S6_16minmax_binary_opIiEEE10hipError_tPvRmT1_T2_T3_mT4_P12ihipStream_tbEUlT_E1_NS1_11comp_targetILNS1_3genE0ELNS1_11target_archE4294967295ELNS1_3gpuE0ELNS1_3repE0EEENS1_30default_config_static_selectorELNS0_4arch9wavefront6targetE0EEEvSR_.has_dyn_sized_stack, 0
	.set _ZN7rocprim17ROCPRIM_400000_NS6detail17trampoline_kernelINS0_14default_configENS1_22reduce_config_selectorI11minmax_pairIiEEEZNS1_11reduce_implILb1ES3_N6thrust23THRUST_200600_302600_NS11hip_rocprim26transform_input_iterator_tIS6_NSA_6detail15normal_iteratorINSA_10device_ptrIiEEEE15minmax_unary_opIiEEEPS6_S6_16minmax_binary_opIiEEE10hipError_tPvRmT1_T2_T3_mT4_P12ihipStream_tbEUlT_E1_NS1_11comp_targetILNS1_3genE0ELNS1_11target_archE4294967295ELNS1_3gpuE0ELNS1_3repE0EEENS1_30default_config_static_selectorELNS0_4arch9wavefront6targetE0EEEvSR_.has_recursion, 0
	.set _ZN7rocprim17ROCPRIM_400000_NS6detail17trampoline_kernelINS0_14default_configENS1_22reduce_config_selectorI11minmax_pairIiEEEZNS1_11reduce_implILb1ES3_N6thrust23THRUST_200600_302600_NS11hip_rocprim26transform_input_iterator_tIS6_NSA_6detail15normal_iteratorINSA_10device_ptrIiEEEE15minmax_unary_opIiEEEPS6_S6_16minmax_binary_opIiEEE10hipError_tPvRmT1_T2_T3_mT4_P12ihipStream_tbEUlT_E1_NS1_11comp_targetILNS1_3genE0ELNS1_11target_archE4294967295ELNS1_3gpuE0ELNS1_3repE0EEENS1_30default_config_static_selectorELNS0_4arch9wavefront6targetE0EEEvSR_.has_indirect_call, 0
	.section	.AMDGPU.csdata,"",@progbits
; Kernel info:
; codeLenInByte = 9284
; TotalNumSgprs: 32
; NumVgprs: 19
; ScratchSize: 0
; MemoryBound: 0
; FloatMode: 240
; IeeeMode: 1
; LDSByteSize: 384 bytes/workgroup (compile time only)
; SGPRBlocks: 0
; VGPRBlocks: 1
; NumSGPRsForWavesPerEU: 32
; NumVGPRsForWavesPerEU: 19
; NamedBarCnt: 0
; Occupancy: 16
; WaveLimiterHint : 1
; COMPUTE_PGM_RSRC2:SCRATCH_EN: 0
; COMPUTE_PGM_RSRC2:USER_SGPR: 2
; COMPUTE_PGM_RSRC2:TRAP_HANDLER: 0
; COMPUTE_PGM_RSRC2:TGID_X_EN: 1
; COMPUTE_PGM_RSRC2:TGID_Y_EN: 0
; COMPUTE_PGM_RSRC2:TGID_Z_EN: 0
; COMPUTE_PGM_RSRC2:TIDIG_COMP_CNT: 0
	.section	.text._ZN7rocprim17ROCPRIM_400000_NS6detail17trampoline_kernelINS0_14default_configENS1_22reduce_config_selectorI11minmax_pairIiEEEZNS1_11reduce_implILb1ES3_N6thrust23THRUST_200600_302600_NS11hip_rocprim26transform_input_iterator_tIS6_NSA_6detail15normal_iteratorINSA_10device_ptrIiEEEE15minmax_unary_opIiEEEPS6_S6_16minmax_binary_opIiEEE10hipError_tPvRmT1_T2_T3_mT4_P12ihipStream_tbEUlT_E1_NS1_11comp_targetILNS1_3genE5ELNS1_11target_archE942ELNS1_3gpuE9ELNS1_3repE0EEENS1_30default_config_static_selectorELNS0_4arch9wavefront6targetE0EEEvSR_,"axG",@progbits,_ZN7rocprim17ROCPRIM_400000_NS6detail17trampoline_kernelINS0_14default_configENS1_22reduce_config_selectorI11minmax_pairIiEEEZNS1_11reduce_implILb1ES3_N6thrust23THRUST_200600_302600_NS11hip_rocprim26transform_input_iterator_tIS6_NSA_6detail15normal_iteratorINSA_10device_ptrIiEEEE15minmax_unary_opIiEEEPS6_S6_16minmax_binary_opIiEEE10hipError_tPvRmT1_T2_T3_mT4_P12ihipStream_tbEUlT_E1_NS1_11comp_targetILNS1_3genE5ELNS1_11target_archE942ELNS1_3gpuE9ELNS1_3repE0EEENS1_30default_config_static_selectorELNS0_4arch9wavefront6targetE0EEEvSR_,comdat
	.protected	_ZN7rocprim17ROCPRIM_400000_NS6detail17trampoline_kernelINS0_14default_configENS1_22reduce_config_selectorI11minmax_pairIiEEEZNS1_11reduce_implILb1ES3_N6thrust23THRUST_200600_302600_NS11hip_rocprim26transform_input_iterator_tIS6_NSA_6detail15normal_iteratorINSA_10device_ptrIiEEEE15minmax_unary_opIiEEEPS6_S6_16minmax_binary_opIiEEE10hipError_tPvRmT1_T2_T3_mT4_P12ihipStream_tbEUlT_E1_NS1_11comp_targetILNS1_3genE5ELNS1_11target_archE942ELNS1_3gpuE9ELNS1_3repE0EEENS1_30default_config_static_selectorELNS0_4arch9wavefront6targetE0EEEvSR_ ; -- Begin function _ZN7rocprim17ROCPRIM_400000_NS6detail17trampoline_kernelINS0_14default_configENS1_22reduce_config_selectorI11minmax_pairIiEEEZNS1_11reduce_implILb1ES3_N6thrust23THRUST_200600_302600_NS11hip_rocprim26transform_input_iterator_tIS6_NSA_6detail15normal_iteratorINSA_10device_ptrIiEEEE15minmax_unary_opIiEEEPS6_S6_16minmax_binary_opIiEEE10hipError_tPvRmT1_T2_T3_mT4_P12ihipStream_tbEUlT_E1_NS1_11comp_targetILNS1_3genE5ELNS1_11target_archE942ELNS1_3gpuE9ELNS1_3repE0EEENS1_30default_config_static_selectorELNS0_4arch9wavefront6targetE0EEEvSR_
	.globl	_ZN7rocprim17ROCPRIM_400000_NS6detail17trampoline_kernelINS0_14default_configENS1_22reduce_config_selectorI11minmax_pairIiEEEZNS1_11reduce_implILb1ES3_N6thrust23THRUST_200600_302600_NS11hip_rocprim26transform_input_iterator_tIS6_NSA_6detail15normal_iteratorINSA_10device_ptrIiEEEE15minmax_unary_opIiEEEPS6_S6_16minmax_binary_opIiEEE10hipError_tPvRmT1_T2_T3_mT4_P12ihipStream_tbEUlT_E1_NS1_11comp_targetILNS1_3genE5ELNS1_11target_archE942ELNS1_3gpuE9ELNS1_3repE0EEENS1_30default_config_static_selectorELNS0_4arch9wavefront6targetE0EEEvSR_
	.p2align	8
	.type	_ZN7rocprim17ROCPRIM_400000_NS6detail17trampoline_kernelINS0_14default_configENS1_22reduce_config_selectorI11minmax_pairIiEEEZNS1_11reduce_implILb1ES3_N6thrust23THRUST_200600_302600_NS11hip_rocprim26transform_input_iterator_tIS6_NSA_6detail15normal_iteratorINSA_10device_ptrIiEEEE15minmax_unary_opIiEEEPS6_S6_16minmax_binary_opIiEEE10hipError_tPvRmT1_T2_T3_mT4_P12ihipStream_tbEUlT_E1_NS1_11comp_targetILNS1_3genE5ELNS1_11target_archE942ELNS1_3gpuE9ELNS1_3repE0EEENS1_30default_config_static_selectorELNS0_4arch9wavefront6targetE0EEEvSR_,@function
_ZN7rocprim17ROCPRIM_400000_NS6detail17trampoline_kernelINS0_14default_configENS1_22reduce_config_selectorI11minmax_pairIiEEEZNS1_11reduce_implILb1ES3_N6thrust23THRUST_200600_302600_NS11hip_rocprim26transform_input_iterator_tIS6_NSA_6detail15normal_iteratorINSA_10device_ptrIiEEEE15minmax_unary_opIiEEEPS6_S6_16minmax_binary_opIiEEE10hipError_tPvRmT1_T2_T3_mT4_P12ihipStream_tbEUlT_E1_NS1_11comp_targetILNS1_3genE5ELNS1_11target_archE942ELNS1_3gpuE9ELNS1_3repE0EEENS1_30default_config_static_selectorELNS0_4arch9wavefront6targetE0EEEvSR_: ; @_ZN7rocprim17ROCPRIM_400000_NS6detail17trampoline_kernelINS0_14default_configENS1_22reduce_config_selectorI11minmax_pairIiEEEZNS1_11reduce_implILb1ES3_N6thrust23THRUST_200600_302600_NS11hip_rocprim26transform_input_iterator_tIS6_NSA_6detail15normal_iteratorINSA_10device_ptrIiEEEE15minmax_unary_opIiEEEPS6_S6_16minmax_binary_opIiEEE10hipError_tPvRmT1_T2_T3_mT4_P12ihipStream_tbEUlT_E1_NS1_11comp_targetILNS1_3genE5ELNS1_11target_archE942ELNS1_3gpuE9ELNS1_3repE0EEENS1_30default_config_static_selectorELNS0_4arch9wavefront6targetE0EEEvSR_
; %bb.0:
	.section	.rodata,"a",@progbits
	.p2align	6, 0x0
	.amdhsa_kernel _ZN7rocprim17ROCPRIM_400000_NS6detail17trampoline_kernelINS0_14default_configENS1_22reduce_config_selectorI11minmax_pairIiEEEZNS1_11reduce_implILb1ES3_N6thrust23THRUST_200600_302600_NS11hip_rocprim26transform_input_iterator_tIS6_NSA_6detail15normal_iteratorINSA_10device_ptrIiEEEE15minmax_unary_opIiEEEPS6_S6_16minmax_binary_opIiEEE10hipError_tPvRmT1_T2_T3_mT4_P12ihipStream_tbEUlT_E1_NS1_11comp_targetILNS1_3genE5ELNS1_11target_archE942ELNS1_3gpuE9ELNS1_3repE0EEENS1_30default_config_static_selectorELNS0_4arch9wavefront6targetE0EEEvSR_
		.amdhsa_group_segment_fixed_size 0
		.amdhsa_private_segment_fixed_size 0
		.amdhsa_kernarg_size 56
		.amdhsa_user_sgpr_count 2
		.amdhsa_user_sgpr_dispatch_ptr 0
		.amdhsa_user_sgpr_queue_ptr 0
		.amdhsa_user_sgpr_kernarg_segment_ptr 1
		.amdhsa_user_sgpr_dispatch_id 0
		.amdhsa_user_sgpr_kernarg_preload_length 0
		.amdhsa_user_sgpr_kernarg_preload_offset 0
		.amdhsa_user_sgpr_private_segment_size 0
		.amdhsa_wavefront_size32 1
		.amdhsa_uses_dynamic_stack 0
		.amdhsa_enable_private_segment 0
		.amdhsa_system_sgpr_workgroup_id_x 1
		.amdhsa_system_sgpr_workgroup_id_y 0
		.amdhsa_system_sgpr_workgroup_id_z 0
		.amdhsa_system_sgpr_workgroup_info 0
		.amdhsa_system_vgpr_workitem_id 0
		.amdhsa_next_free_vgpr 1
		.amdhsa_next_free_sgpr 1
		.amdhsa_named_barrier_count 0
		.amdhsa_reserve_vcc 0
		.amdhsa_float_round_mode_32 0
		.amdhsa_float_round_mode_16_64 0
		.amdhsa_float_denorm_mode_32 3
		.amdhsa_float_denorm_mode_16_64 3
		.amdhsa_fp16_overflow 0
		.amdhsa_memory_ordered 1
		.amdhsa_forward_progress 1
		.amdhsa_inst_pref_size 0
		.amdhsa_round_robin_scheduling 0
		.amdhsa_exception_fp_ieee_invalid_op 0
		.amdhsa_exception_fp_denorm_src 0
		.amdhsa_exception_fp_ieee_div_zero 0
		.amdhsa_exception_fp_ieee_overflow 0
		.amdhsa_exception_fp_ieee_underflow 0
		.amdhsa_exception_fp_ieee_inexact 0
		.amdhsa_exception_int_div_zero 0
	.end_amdhsa_kernel
	.section	.text._ZN7rocprim17ROCPRIM_400000_NS6detail17trampoline_kernelINS0_14default_configENS1_22reduce_config_selectorI11minmax_pairIiEEEZNS1_11reduce_implILb1ES3_N6thrust23THRUST_200600_302600_NS11hip_rocprim26transform_input_iterator_tIS6_NSA_6detail15normal_iteratorINSA_10device_ptrIiEEEE15minmax_unary_opIiEEEPS6_S6_16minmax_binary_opIiEEE10hipError_tPvRmT1_T2_T3_mT4_P12ihipStream_tbEUlT_E1_NS1_11comp_targetILNS1_3genE5ELNS1_11target_archE942ELNS1_3gpuE9ELNS1_3repE0EEENS1_30default_config_static_selectorELNS0_4arch9wavefront6targetE0EEEvSR_,"axG",@progbits,_ZN7rocprim17ROCPRIM_400000_NS6detail17trampoline_kernelINS0_14default_configENS1_22reduce_config_selectorI11minmax_pairIiEEEZNS1_11reduce_implILb1ES3_N6thrust23THRUST_200600_302600_NS11hip_rocprim26transform_input_iterator_tIS6_NSA_6detail15normal_iteratorINSA_10device_ptrIiEEEE15minmax_unary_opIiEEEPS6_S6_16minmax_binary_opIiEEE10hipError_tPvRmT1_T2_T3_mT4_P12ihipStream_tbEUlT_E1_NS1_11comp_targetILNS1_3genE5ELNS1_11target_archE942ELNS1_3gpuE9ELNS1_3repE0EEENS1_30default_config_static_selectorELNS0_4arch9wavefront6targetE0EEEvSR_,comdat
.Lfunc_end29:
	.size	_ZN7rocprim17ROCPRIM_400000_NS6detail17trampoline_kernelINS0_14default_configENS1_22reduce_config_selectorI11minmax_pairIiEEEZNS1_11reduce_implILb1ES3_N6thrust23THRUST_200600_302600_NS11hip_rocprim26transform_input_iterator_tIS6_NSA_6detail15normal_iteratorINSA_10device_ptrIiEEEE15minmax_unary_opIiEEEPS6_S6_16minmax_binary_opIiEEE10hipError_tPvRmT1_T2_T3_mT4_P12ihipStream_tbEUlT_E1_NS1_11comp_targetILNS1_3genE5ELNS1_11target_archE942ELNS1_3gpuE9ELNS1_3repE0EEENS1_30default_config_static_selectorELNS0_4arch9wavefront6targetE0EEEvSR_, .Lfunc_end29-_ZN7rocprim17ROCPRIM_400000_NS6detail17trampoline_kernelINS0_14default_configENS1_22reduce_config_selectorI11minmax_pairIiEEEZNS1_11reduce_implILb1ES3_N6thrust23THRUST_200600_302600_NS11hip_rocprim26transform_input_iterator_tIS6_NSA_6detail15normal_iteratorINSA_10device_ptrIiEEEE15minmax_unary_opIiEEEPS6_S6_16minmax_binary_opIiEEE10hipError_tPvRmT1_T2_T3_mT4_P12ihipStream_tbEUlT_E1_NS1_11comp_targetILNS1_3genE5ELNS1_11target_archE942ELNS1_3gpuE9ELNS1_3repE0EEENS1_30default_config_static_selectorELNS0_4arch9wavefront6targetE0EEEvSR_
                                        ; -- End function
	.set _ZN7rocprim17ROCPRIM_400000_NS6detail17trampoline_kernelINS0_14default_configENS1_22reduce_config_selectorI11minmax_pairIiEEEZNS1_11reduce_implILb1ES3_N6thrust23THRUST_200600_302600_NS11hip_rocprim26transform_input_iterator_tIS6_NSA_6detail15normal_iteratorINSA_10device_ptrIiEEEE15minmax_unary_opIiEEEPS6_S6_16minmax_binary_opIiEEE10hipError_tPvRmT1_T2_T3_mT4_P12ihipStream_tbEUlT_E1_NS1_11comp_targetILNS1_3genE5ELNS1_11target_archE942ELNS1_3gpuE9ELNS1_3repE0EEENS1_30default_config_static_selectorELNS0_4arch9wavefront6targetE0EEEvSR_.num_vgpr, 0
	.set _ZN7rocprim17ROCPRIM_400000_NS6detail17trampoline_kernelINS0_14default_configENS1_22reduce_config_selectorI11minmax_pairIiEEEZNS1_11reduce_implILb1ES3_N6thrust23THRUST_200600_302600_NS11hip_rocprim26transform_input_iterator_tIS6_NSA_6detail15normal_iteratorINSA_10device_ptrIiEEEE15minmax_unary_opIiEEEPS6_S6_16minmax_binary_opIiEEE10hipError_tPvRmT1_T2_T3_mT4_P12ihipStream_tbEUlT_E1_NS1_11comp_targetILNS1_3genE5ELNS1_11target_archE942ELNS1_3gpuE9ELNS1_3repE0EEENS1_30default_config_static_selectorELNS0_4arch9wavefront6targetE0EEEvSR_.num_agpr, 0
	.set _ZN7rocprim17ROCPRIM_400000_NS6detail17trampoline_kernelINS0_14default_configENS1_22reduce_config_selectorI11minmax_pairIiEEEZNS1_11reduce_implILb1ES3_N6thrust23THRUST_200600_302600_NS11hip_rocprim26transform_input_iterator_tIS6_NSA_6detail15normal_iteratorINSA_10device_ptrIiEEEE15minmax_unary_opIiEEEPS6_S6_16minmax_binary_opIiEEE10hipError_tPvRmT1_T2_T3_mT4_P12ihipStream_tbEUlT_E1_NS1_11comp_targetILNS1_3genE5ELNS1_11target_archE942ELNS1_3gpuE9ELNS1_3repE0EEENS1_30default_config_static_selectorELNS0_4arch9wavefront6targetE0EEEvSR_.numbered_sgpr, 0
	.set _ZN7rocprim17ROCPRIM_400000_NS6detail17trampoline_kernelINS0_14default_configENS1_22reduce_config_selectorI11minmax_pairIiEEEZNS1_11reduce_implILb1ES3_N6thrust23THRUST_200600_302600_NS11hip_rocprim26transform_input_iterator_tIS6_NSA_6detail15normal_iteratorINSA_10device_ptrIiEEEE15minmax_unary_opIiEEEPS6_S6_16minmax_binary_opIiEEE10hipError_tPvRmT1_T2_T3_mT4_P12ihipStream_tbEUlT_E1_NS1_11comp_targetILNS1_3genE5ELNS1_11target_archE942ELNS1_3gpuE9ELNS1_3repE0EEENS1_30default_config_static_selectorELNS0_4arch9wavefront6targetE0EEEvSR_.num_named_barrier, 0
	.set _ZN7rocprim17ROCPRIM_400000_NS6detail17trampoline_kernelINS0_14default_configENS1_22reduce_config_selectorI11minmax_pairIiEEEZNS1_11reduce_implILb1ES3_N6thrust23THRUST_200600_302600_NS11hip_rocprim26transform_input_iterator_tIS6_NSA_6detail15normal_iteratorINSA_10device_ptrIiEEEE15minmax_unary_opIiEEEPS6_S6_16minmax_binary_opIiEEE10hipError_tPvRmT1_T2_T3_mT4_P12ihipStream_tbEUlT_E1_NS1_11comp_targetILNS1_3genE5ELNS1_11target_archE942ELNS1_3gpuE9ELNS1_3repE0EEENS1_30default_config_static_selectorELNS0_4arch9wavefront6targetE0EEEvSR_.private_seg_size, 0
	.set _ZN7rocprim17ROCPRIM_400000_NS6detail17trampoline_kernelINS0_14default_configENS1_22reduce_config_selectorI11minmax_pairIiEEEZNS1_11reduce_implILb1ES3_N6thrust23THRUST_200600_302600_NS11hip_rocprim26transform_input_iterator_tIS6_NSA_6detail15normal_iteratorINSA_10device_ptrIiEEEE15minmax_unary_opIiEEEPS6_S6_16minmax_binary_opIiEEE10hipError_tPvRmT1_T2_T3_mT4_P12ihipStream_tbEUlT_E1_NS1_11comp_targetILNS1_3genE5ELNS1_11target_archE942ELNS1_3gpuE9ELNS1_3repE0EEENS1_30default_config_static_selectorELNS0_4arch9wavefront6targetE0EEEvSR_.uses_vcc, 0
	.set _ZN7rocprim17ROCPRIM_400000_NS6detail17trampoline_kernelINS0_14default_configENS1_22reduce_config_selectorI11minmax_pairIiEEEZNS1_11reduce_implILb1ES3_N6thrust23THRUST_200600_302600_NS11hip_rocprim26transform_input_iterator_tIS6_NSA_6detail15normal_iteratorINSA_10device_ptrIiEEEE15minmax_unary_opIiEEEPS6_S6_16minmax_binary_opIiEEE10hipError_tPvRmT1_T2_T3_mT4_P12ihipStream_tbEUlT_E1_NS1_11comp_targetILNS1_3genE5ELNS1_11target_archE942ELNS1_3gpuE9ELNS1_3repE0EEENS1_30default_config_static_selectorELNS0_4arch9wavefront6targetE0EEEvSR_.uses_flat_scratch, 0
	.set _ZN7rocprim17ROCPRIM_400000_NS6detail17trampoline_kernelINS0_14default_configENS1_22reduce_config_selectorI11minmax_pairIiEEEZNS1_11reduce_implILb1ES3_N6thrust23THRUST_200600_302600_NS11hip_rocprim26transform_input_iterator_tIS6_NSA_6detail15normal_iteratorINSA_10device_ptrIiEEEE15minmax_unary_opIiEEEPS6_S6_16minmax_binary_opIiEEE10hipError_tPvRmT1_T2_T3_mT4_P12ihipStream_tbEUlT_E1_NS1_11comp_targetILNS1_3genE5ELNS1_11target_archE942ELNS1_3gpuE9ELNS1_3repE0EEENS1_30default_config_static_selectorELNS0_4arch9wavefront6targetE0EEEvSR_.has_dyn_sized_stack, 0
	.set _ZN7rocprim17ROCPRIM_400000_NS6detail17trampoline_kernelINS0_14default_configENS1_22reduce_config_selectorI11minmax_pairIiEEEZNS1_11reduce_implILb1ES3_N6thrust23THRUST_200600_302600_NS11hip_rocprim26transform_input_iterator_tIS6_NSA_6detail15normal_iteratorINSA_10device_ptrIiEEEE15minmax_unary_opIiEEEPS6_S6_16minmax_binary_opIiEEE10hipError_tPvRmT1_T2_T3_mT4_P12ihipStream_tbEUlT_E1_NS1_11comp_targetILNS1_3genE5ELNS1_11target_archE942ELNS1_3gpuE9ELNS1_3repE0EEENS1_30default_config_static_selectorELNS0_4arch9wavefront6targetE0EEEvSR_.has_recursion, 0
	.set _ZN7rocprim17ROCPRIM_400000_NS6detail17trampoline_kernelINS0_14default_configENS1_22reduce_config_selectorI11minmax_pairIiEEEZNS1_11reduce_implILb1ES3_N6thrust23THRUST_200600_302600_NS11hip_rocprim26transform_input_iterator_tIS6_NSA_6detail15normal_iteratorINSA_10device_ptrIiEEEE15minmax_unary_opIiEEEPS6_S6_16minmax_binary_opIiEEE10hipError_tPvRmT1_T2_T3_mT4_P12ihipStream_tbEUlT_E1_NS1_11comp_targetILNS1_3genE5ELNS1_11target_archE942ELNS1_3gpuE9ELNS1_3repE0EEENS1_30default_config_static_selectorELNS0_4arch9wavefront6targetE0EEEvSR_.has_indirect_call, 0
	.section	.AMDGPU.csdata,"",@progbits
; Kernel info:
; codeLenInByte = 0
; TotalNumSgprs: 0
; NumVgprs: 0
; ScratchSize: 0
; MemoryBound: 0
; FloatMode: 240
; IeeeMode: 1
; LDSByteSize: 0 bytes/workgroup (compile time only)
; SGPRBlocks: 0
; VGPRBlocks: 0
; NumSGPRsForWavesPerEU: 1
; NumVGPRsForWavesPerEU: 1
; NamedBarCnt: 0
; Occupancy: 16
; WaveLimiterHint : 0
; COMPUTE_PGM_RSRC2:SCRATCH_EN: 0
; COMPUTE_PGM_RSRC2:USER_SGPR: 2
; COMPUTE_PGM_RSRC2:TRAP_HANDLER: 0
; COMPUTE_PGM_RSRC2:TGID_X_EN: 1
; COMPUTE_PGM_RSRC2:TGID_Y_EN: 0
; COMPUTE_PGM_RSRC2:TGID_Z_EN: 0
; COMPUTE_PGM_RSRC2:TIDIG_COMP_CNT: 0
	.section	.text._ZN7rocprim17ROCPRIM_400000_NS6detail17trampoline_kernelINS0_14default_configENS1_22reduce_config_selectorI11minmax_pairIiEEEZNS1_11reduce_implILb1ES3_N6thrust23THRUST_200600_302600_NS11hip_rocprim26transform_input_iterator_tIS6_NSA_6detail15normal_iteratorINSA_10device_ptrIiEEEE15minmax_unary_opIiEEEPS6_S6_16minmax_binary_opIiEEE10hipError_tPvRmT1_T2_T3_mT4_P12ihipStream_tbEUlT_E1_NS1_11comp_targetILNS1_3genE4ELNS1_11target_archE910ELNS1_3gpuE8ELNS1_3repE0EEENS1_30default_config_static_selectorELNS0_4arch9wavefront6targetE0EEEvSR_,"axG",@progbits,_ZN7rocprim17ROCPRIM_400000_NS6detail17trampoline_kernelINS0_14default_configENS1_22reduce_config_selectorI11minmax_pairIiEEEZNS1_11reduce_implILb1ES3_N6thrust23THRUST_200600_302600_NS11hip_rocprim26transform_input_iterator_tIS6_NSA_6detail15normal_iteratorINSA_10device_ptrIiEEEE15minmax_unary_opIiEEEPS6_S6_16minmax_binary_opIiEEE10hipError_tPvRmT1_T2_T3_mT4_P12ihipStream_tbEUlT_E1_NS1_11comp_targetILNS1_3genE4ELNS1_11target_archE910ELNS1_3gpuE8ELNS1_3repE0EEENS1_30default_config_static_selectorELNS0_4arch9wavefront6targetE0EEEvSR_,comdat
	.protected	_ZN7rocprim17ROCPRIM_400000_NS6detail17trampoline_kernelINS0_14default_configENS1_22reduce_config_selectorI11minmax_pairIiEEEZNS1_11reduce_implILb1ES3_N6thrust23THRUST_200600_302600_NS11hip_rocprim26transform_input_iterator_tIS6_NSA_6detail15normal_iteratorINSA_10device_ptrIiEEEE15minmax_unary_opIiEEEPS6_S6_16minmax_binary_opIiEEE10hipError_tPvRmT1_T2_T3_mT4_P12ihipStream_tbEUlT_E1_NS1_11comp_targetILNS1_3genE4ELNS1_11target_archE910ELNS1_3gpuE8ELNS1_3repE0EEENS1_30default_config_static_selectorELNS0_4arch9wavefront6targetE0EEEvSR_ ; -- Begin function _ZN7rocprim17ROCPRIM_400000_NS6detail17trampoline_kernelINS0_14default_configENS1_22reduce_config_selectorI11minmax_pairIiEEEZNS1_11reduce_implILb1ES3_N6thrust23THRUST_200600_302600_NS11hip_rocprim26transform_input_iterator_tIS6_NSA_6detail15normal_iteratorINSA_10device_ptrIiEEEE15minmax_unary_opIiEEEPS6_S6_16minmax_binary_opIiEEE10hipError_tPvRmT1_T2_T3_mT4_P12ihipStream_tbEUlT_E1_NS1_11comp_targetILNS1_3genE4ELNS1_11target_archE910ELNS1_3gpuE8ELNS1_3repE0EEENS1_30default_config_static_selectorELNS0_4arch9wavefront6targetE0EEEvSR_
	.globl	_ZN7rocprim17ROCPRIM_400000_NS6detail17trampoline_kernelINS0_14default_configENS1_22reduce_config_selectorI11minmax_pairIiEEEZNS1_11reduce_implILb1ES3_N6thrust23THRUST_200600_302600_NS11hip_rocprim26transform_input_iterator_tIS6_NSA_6detail15normal_iteratorINSA_10device_ptrIiEEEE15minmax_unary_opIiEEEPS6_S6_16minmax_binary_opIiEEE10hipError_tPvRmT1_T2_T3_mT4_P12ihipStream_tbEUlT_E1_NS1_11comp_targetILNS1_3genE4ELNS1_11target_archE910ELNS1_3gpuE8ELNS1_3repE0EEENS1_30default_config_static_selectorELNS0_4arch9wavefront6targetE0EEEvSR_
	.p2align	8
	.type	_ZN7rocprim17ROCPRIM_400000_NS6detail17trampoline_kernelINS0_14default_configENS1_22reduce_config_selectorI11minmax_pairIiEEEZNS1_11reduce_implILb1ES3_N6thrust23THRUST_200600_302600_NS11hip_rocprim26transform_input_iterator_tIS6_NSA_6detail15normal_iteratorINSA_10device_ptrIiEEEE15minmax_unary_opIiEEEPS6_S6_16minmax_binary_opIiEEE10hipError_tPvRmT1_T2_T3_mT4_P12ihipStream_tbEUlT_E1_NS1_11comp_targetILNS1_3genE4ELNS1_11target_archE910ELNS1_3gpuE8ELNS1_3repE0EEENS1_30default_config_static_selectorELNS0_4arch9wavefront6targetE0EEEvSR_,@function
_ZN7rocprim17ROCPRIM_400000_NS6detail17trampoline_kernelINS0_14default_configENS1_22reduce_config_selectorI11minmax_pairIiEEEZNS1_11reduce_implILb1ES3_N6thrust23THRUST_200600_302600_NS11hip_rocprim26transform_input_iterator_tIS6_NSA_6detail15normal_iteratorINSA_10device_ptrIiEEEE15minmax_unary_opIiEEEPS6_S6_16minmax_binary_opIiEEE10hipError_tPvRmT1_T2_T3_mT4_P12ihipStream_tbEUlT_E1_NS1_11comp_targetILNS1_3genE4ELNS1_11target_archE910ELNS1_3gpuE8ELNS1_3repE0EEENS1_30default_config_static_selectorELNS0_4arch9wavefront6targetE0EEEvSR_: ; @_ZN7rocprim17ROCPRIM_400000_NS6detail17trampoline_kernelINS0_14default_configENS1_22reduce_config_selectorI11minmax_pairIiEEEZNS1_11reduce_implILb1ES3_N6thrust23THRUST_200600_302600_NS11hip_rocprim26transform_input_iterator_tIS6_NSA_6detail15normal_iteratorINSA_10device_ptrIiEEEE15minmax_unary_opIiEEEPS6_S6_16minmax_binary_opIiEEE10hipError_tPvRmT1_T2_T3_mT4_P12ihipStream_tbEUlT_E1_NS1_11comp_targetILNS1_3genE4ELNS1_11target_archE910ELNS1_3gpuE8ELNS1_3repE0EEENS1_30default_config_static_selectorELNS0_4arch9wavefront6targetE0EEEvSR_
; %bb.0:
	.section	.rodata,"a",@progbits
	.p2align	6, 0x0
	.amdhsa_kernel _ZN7rocprim17ROCPRIM_400000_NS6detail17trampoline_kernelINS0_14default_configENS1_22reduce_config_selectorI11minmax_pairIiEEEZNS1_11reduce_implILb1ES3_N6thrust23THRUST_200600_302600_NS11hip_rocprim26transform_input_iterator_tIS6_NSA_6detail15normal_iteratorINSA_10device_ptrIiEEEE15minmax_unary_opIiEEEPS6_S6_16minmax_binary_opIiEEE10hipError_tPvRmT1_T2_T3_mT4_P12ihipStream_tbEUlT_E1_NS1_11comp_targetILNS1_3genE4ELNS1_11target_archE910ELNS1_3gpuE8ELNS1_3repE0EEENS1_30default_config_static_selectorELNS0_4arch9wavefront6targetE0EEEvSR_
		.amdhsa_group_segment_fixed_size 0
		.amdhsa_private_segment_fixed_size 0
		.amdhsa_kernarg_size 56
		.amdhsa_user_sgpr_count 2
		.amdhsa_user_sgpr_dispatch_ptr 0
		.amdhsa_user_sgpr_queue_ptr 0
		.amdhsa_user_sgpr_kernarg_segment_ptr 1
		.amdhsa_user_sgpr_dispatch_id 0
		.amdhsa_user_sgpr_kernarg_preload_length 0
		.amdhsa_user_sgpr_kernarg_preload_offset 0
		.amdhsa_user_sgpr_private_segment_size 0
		.amdhsa_wavefront_size32 1
		.amdhsa_uses_dynamic_stack 0
		.amdhsa_enable_private_segment 0
		.amdhsa_system_sgpr_workgroup_id_x 1
		.amdhsa_system_sgpr_workgroup_id_y 0
		.amdhsa_system_sgpr_workgroup_id_z 0
		.amdhsa_system_sgpr_workgroup_info 0
		.amdhsa_system_vgpr_workitem_id 0
		.amdhsa_next_free_vgpr 1
		.amdhsa_next_free_sgpr 1
		.amdhsa_named_barrier_count 0
		.amdhsa_reserve_vcc 0
		.amdhsa_float_round_mode_32 0
		.amdhsa_float_round_mode_16_64 0
		.amdhsa_float_denorm_mode_32 3
		.amdhsa_float_denorm_mode_16_64 3
		.amdhsa_fp16_overflow 0
		.amdhsa_memory_ordered 1
		.amdhsa_forward_progress 1
		.amdhsa_inst_pref_size 0
		.amdhsa_round_robin_scheduling 0
		.amdhsa_exception_fp_ieee_invalid_op 0
		.amdhsa_exception_fp_denorm_src 0
		.amdhsa_exception_fp_ieee_div_zero 0
		.amdhsa_exception_fp_ieee_overflow 0
		.amdhsa_exception_fp_ieee_underflow 0
		.amdhsa_exception_fp_ieee_inexact 0
		.amdhsa_exception_int_div_zero 0
	.end_amdhsa_kernel
	.section	.text._ZN7rocprim17ROCPRIM_400000_NS6detail17trampoline_kernelINS0_14default_configENS1_22reduce_config_selectorI11minmax_pairIiEEEZNS1_11reduce_implILb1ES3_N6thrust23THRUST_200600_302600_NS11hip_rocprim26transform_input_iterator_tIS6_NSA_6detail15normal_iteratorINSA_10device_ptrIiEEEE15minmax_unary_opIiEEEPS6_S6_16minmax_binary_opIiEEE10hipError_tPvRmT1_T2_T3_mT4_P12ihipStream_tbEUlT_E1_NS1_11comp_targetILNS1_3genE4ELNS1_11target_archE910ELNS1_3gpuE8ELNS1_3repE0EEENS1_30default_config_static_selectorELNS0_4arch9wavefront6targetE0EEEvSR_,"axG",@progbits,_ZN7rocprim17ROCPRIM_400000_NS6detail17trampoline_kernelINS0_14default_configENS1_22reduce_config_selectorI11minmax_pairIiEEEZNS1_11reduce_implILb1ES3_N6thrust23THRUST_200600_302600_NS11hip_rocprim26transform_input_iterator_tIS6_NSA_6detail15normal_iteratorINSA_10device_ptrIiEEEE15minmax_unary_opIiEEEPS6_S6_16minmax_binary_opIiEEE10hipError_tPvRmT1_T2_T3_mT4_P12ihipStream_tbEUlT_E1_NS1_11comp_targetILNS1_3genE4ELNS1_11target_archE910ELNS1_3gpuE8ELNS1_3repE0EEENS1_30default_config_static_selectorELNS0_4arch9wavefront6targetE0EEEvSR_,comdat
.Lfunc_end30:
	.size	_ZN7rocprim17ROCPRIM_400000_NS6detail17trampoline_kernelINS0_14default_configENS1_22reduce_config_selectorI11minmax_pairIiEEEZNS1_11reduce_implILb1ES3_N6thrust23THRUST_200600_302600_NS11hip_rocprim26transform_input_iterator_tIS6_NSA_6detail15normal_iteratorINSA_10device_ptrIiEEEE15minmax_unary_opIiEEEPS6_S6_16minmax_binary_opIiEEE10hipError_tPvRmT1_T2_T3_mT4_P12ihipStream_tbEUlT_E1_NS1_11comp_targetILNS1_3genE4ELNS1_11target_archE910ELNS1_3gpuE8ELNS1_3repE0EEENS1_30default_config_static_selectorELNS0_4arch9wavefront6targetE0EEEvSR_, .Lfunc_end30-_ZN7rocprim17ROCPRIM_400000_NS6detail17trampoline_kernelINS0_14default_configENS1_22reduce_config_selectorI11minmax_pairIiEEEZNS1_11reduce_implILb1ES3_N6thrust23THRUST_200600_302600_NS11hip_rocprim26transform_input_iterator_tIS6_NSA_6detail15normal_iteratorINSA_10device_ptrIiEEEE15minmax_unary_opIiEEEPS6_S6_16minmax_binary_opIiEEE10hipError_tPvRmT1_T2_T3_mT4_P12ihipStream_tbEUlT_E1_NS1_11comp_targetILNS1_3genE4ELNS1_11target_archE910ELNS1_3gpuE8ELNS1_3repE0EEENS1_30default_config_static_selectorELNS0_4arch9wavefront6targetE0EEEvSR_
                                        ; -- End function
	.set _ZN7rocprim17ROCPRIM_400000_NS6detail17trampoline_kernelINS0_14default_configENS1_22reduce_config_selectorI11minmax_pairIiEEEZNS1_11reduce_implILb1ES3_N6thrust23THRUST_200600_302600_NS11hip_rocprim26transform_input_iterator_tIS6_NSA_6detail15normal_iteratorINSA_10device_ptrIiEEEE15minmax_unary_opIiEEEPS6_S6_16minmax_binary_opIiEEE10hipError_tPvRmT1_T2_T3_mT4_P12ihipStream_tbEUlT_E1_NS1_11comp_targetILNS1_3genE4ELNS1_11target_archE910ELNS1_3gpuE8ELNS1_3repE0EEENS1_30default_config_static_selectorELNS0_4arch9wavefront6targetE0EEEvSR_.num_vgpr, 0
	.set _ZN7rocprim17ROCPRIM_400000_NS6detail17trampoline_kernelINS0_14default_configENS1_22reduce_config_selectorI11minmax_pairIiEEEZNS1_11reduce_implILb1ES3_N6thrust23THRUST_200600_302600_NS11hip_rocprim26transform_input_iterator_tIS6_NSA_6detail15normal_iteratorINSA_10device_ptrIiEEEE15minmax_unary_opIiEEEPS6_S6_16minmax_binary_opIiEEE10hipError_tPvRmT1_T2_T3_mT4_P12ihipStream_tbEUlT_E1_NS1_11comp_targetILNS1_3genE4ELNS1_11target_archE910ELNS1_3gpuE8ELNS1_3repE0EEENS1_30default_config_static_selectorELNS0_4arch9wavefront6targetE0EEEvSR_.num_agpr, 0
	.set _ZN7rocprim17ROCPRIM_400000_NS6detail17trampoline_kernelINS0_14default_configENS1_22reduce_config_selectorI11minmax_pairIiEEEZNS1_11reduce_implILb1ES3_N6thrust23THRUST_200600_302600_NS11hip_rocprim26transform_input_iterator_tIS6_NSA_6detail15normal_iteratorINSA_10device_ptrIiEEEE15minmax_unary_opIiEEEPS6_S6_16minmax_binary_opIiEEE10hipError_tPvRmT1_T2_T3_mT4_P12ihipStream_tbEUlT_E1_NS1_11comp_targetILNS1_3genE4ELNS1_11target_archE910ELNS1_3gpuE8ELNS1_3repE0EEENS1_30default_config_static_selectorELNS0_4arch9wavefront6targetE0EEEvSR_.numbered_sgpr, 0
	.set _ZN7rocprim17ROCPRIM_400000_NS6detail17trampoline_kernelINS0_14default_configENS1_22reduce_config_selectorI11minmax_pairIiEEEZNS1_11reduce_implILb1ES3_N6thrust23THRUST_200600_302600_NS11hip_rocprim26transform_input_iterator_tIS6_NSA_6detail15normal_iteratorINSA_10device_ptrIiEEEE15minmax_unary_opIiEEEPS6_S6_16minmax_binary_opIiEEE10hipError_tPvRmT1_T2_T3_mT4_P12ihipStream_tbEUlT_E1_NS1_11comp_targetILNS1_3genE4ELNS1_11target_archE910ELNS1_3gpuE8ELNS1_3repE0EEENS1_30default_config_static_selectorELNS0_4arch9wavefront6targetE0EEEvSR_.num_named_barrier, 0
	.set _ZN7rocprim17ROCPRIM_400000_NS6detail17trampoline_kernelINS0_14default_configENS1_22reduce_config_selectorI11minmax_pairIiEEEZNS1_11reduce_implILb1ES3_N6thrust23THRUST_200600_302600_NS11hip_rocprim26transform_input_iterator_tIS6_NSA_6detail15normal_iteratorINSA_10device_ptrIiEEEE15minmax_unary_opIiEEEPS6_S6_16minmax_binary_opIiEEE10hipError_tPvRmT1_T2_T3_mT4_P12ihipStream_tbEUlT_E1_NS1_11comp_targetILNS1_3genE4ELNS1_11target_archE910ELNS1_3gpuE8ELNS1_3repE0EEENS1_30default_config_static_selectorELNS0_4arch9wavefront6targetE0EEEvSR_.private_seg_size, 0
	.set _ZN7rocprim17ROCPRIM_400000_NS6detail17trampoline_kernelINS0_14default_configENS1_22reduce_config_selectorI11minmax_pairIiEEEZNS1_11reduce_implILb1ES3_N6thrust23THRUST_200600_302600_NS11hip_rocprim26transform_input_iterator_tIS6_NSA_6detail15normal_iteratorINSA_10device_ptrIiEEEE15minmax_unary_opIiEEEPS6_S6_16minmax_binary_opIiEEE10hipError_tPvRmT1_T2_T3_mT4_P12ihipStream_tbEUlT_E1_NS1_11comp_targetILNS1_3genE4ELNS1_11target_archE910ELNS1_3gpuE8ELNS1_3repE0EEENS1_30default_config_static_selectorELNS0_4arch9wavefront6targetE0EEEvSR_.uses_vcc, 0
	.set _ZN7rocprim17ROCPRIM_400000_NS6detail17trampoline_kernelINS0_14default_configENS1_22reduce_config_selectorI11minmax_pairIiEEEZNS1_11reduce_implILb1ES3_N6thrust23THRUST_200600_302600_NS11hip_rocprim26transform_input_iterator_tIS6_NSA_6detail15normal_iteratorINSA_10device_ptrIiEEEE15minmax_unary_opIiEEEPS6_S6_16minmax_binary_opIiEEE10hipError_tPvRmT1_T2_T3_mT4_P12ihipStream_tbEUlT_E1_NS1_11comp_targetILNS1_3genE4ELNS1_11target_archE910ELNS1_3gpuE8ELNS1_3repE0EEENS1_30default_config_static_selectorELNS0_4arch9wavefront6targetE0EEEvSR_.uses_flat_scratch, 0
	.set _ZN7rocprim17ROCPRIM_400000_NS6detail17trampoline_kernelINS0_14default_configENS1_22reduce_config_selectorI11minmax_pairIiEEEZNS1_11reduce_implILb1ES3_N6thrust23THRUST_200600_302600_NS11hip_rocprim26transform_input_iterator_tIS6_NSA_6detail15normal_iteratorINSA_10device_ptrIiEEEE15minmax_unary_opIiEEEPS6_S6_16minmax_binary_opIiEEE10hipError_tPvRmT1_T2_T3_mT4_P12ihipStream_tbEUlT_E1_NS1_11comp_targetILNS1_3genE4ELNS1_11target_archE910ELNS1_3gpuE8ELNS1_3repE0EEENS1_30default_config_static_selectorELNS0_4arch9wavefront6targetE0EEEvSR_.has_dyn_sized_stack, 0
	.set _ZN7rocprim17ROCPRIM_400000_NS6detail17trampoline_kernelINS0_14default_configENS1_22reduce_config_selectorI11minmax_pairIiEEEZNS1_11reduce_implILb1ES3_N6thrust23THRUST_200600_302600_NS11hip_rocprim26transform_input_iterator_tIS6_NSA_6detail15normal_iteratorINSA_10device_ptrIiEEEE15minmax_unary_opIiEEEPS6_S6_16minmax_binary_opIiEEE10hipError_tPvRmT1_T2_T3_mT4_P12ihipStream_tbEUlT_E1_NS1_11comp_targetILNS1_3genE4ELNS1_11target_archE910ELNS1_3gpuE8ELNS1_3repE0EEENS1_30default_config_static_selectorELNS0_4arch9wavefront6targetE0EEEvSR_.has_recursion, 0
	.set _ZN7rocprim17ROCPRIM_400000_NS6detail17trampoline_kernelINS0_14default_configENS1_22reduce_config_selectorI11minmax_pairIiEEEZNS1_11reduce_implILb1ES3_N6thrust23THRUST_200600_302600_NS11hip_rocprim26transform_input_iterator_tIS6_NSA_6detail15normal_iteratorINSA_10device_ptrIiEEEE15minmax_unary_opIiEEEPS6_S6_16minmax_binary_opIiEEE10hipError_tPvRmT1_T2_T3_mT4_P12ihipStream_tbEUlT_E1_NS1_11comp_targetILNS1_3genE4ELNS1_11target_archE910ELNS1_3gpuE8ELNS1_3repE0EEENS1_30default_config_static_selectorELNS0_4arch9wavefront6targetE0EEEvSR_.has_indirect_call, 0
	.section	.AMDGPU.csdata,"",@progbits
; Kernel info:
; codeLenInByte = 0
; TotalNumSgprs: 0
; NumVgprs: 0
; ScratchSize: 0
; MemoryBound: 0
; FloatMode: 240
; IeeeMode: 1
; LDSByteSize: 0 bytes/workgroup (compile time only)
; SGPRBlocks: 0
; VGPRBlocks: 0
; NumSGPRsForWavesPerEU: 1
; NumVGPRsForWavesPerEU: 1
; NamedBarCnt: 0
; Occupancy: 16
; WaveLimiterHint : 0
; COMPUTE_PGM_RSRC2:SCRATCH_EN: 0
; COMPUTE_PGM_RSRC2:USER_SGPR: 2
; COMPUTE_PGM_RSRC2:TRAP_HANDLER: 0
; COMPUTE_PGM_RSRC2:TGID_X_EN: 1
; COMPUTE_PGM_RSRC2:TGID_Y_EN: 0
; COMPUTE_PGM_RSRC2:TGID_Z_EN: 0
; COMPUTE_PGM_RSRC2:TIDIG_COMP_CNT: 0
	.section	.text._ZN7rocprim17ROCPRIM_400000_NS6detail17trampoline_kernelINS0_14default_configENS1_22reduce_config_selectorI11minmax_pairIiEEEZNS1_11reduce_implILb1ES3_N6thrust23THRUST_200600_302600_NS11hip_rocprim26transform_input_iterator_tIS6_NSA_6detail15normal_iteratorINSA_10device_ptrIiEEEE15minmax_unary_opIiEEEPS6_S6_16minmax_binary_opIiEEE10hipError_tPvRmT1_T2_T3_mT4_P12ihipStream_tbEUlT_E1_NS1_11comp_targetILNS1_3genE3ELNS1_11target_archE908ELNS1_3gpuE7ELNS1_3repE0EEENS1_30default_config_static_selectorELNS0_4arch9wavefront6targetE0EEEvSR_,"axG",@progbits,_ZN7rocprim17ROCPRIM_400000_NS6detail17trampoline_kernelINS0_14default_configENS1_22reduce_config_selectorI11minmax_pairIiEEEZNS1_11reduce_implILb1ES3_N6thrust23THRUST_200600_302600_NS11hip_rocprim26transform_input_iterator_tIS6_NSA_6detail15normal_iteratorINSA_10device_ptrIiEEEE15minmax_unary_opIiEEEPS6_S6_16minmax_binary_opIiEEE10hipError_tPvRmT1_T2_T3_mT4_P12ihipStream_tbEUlT_E1_NS1_11comp_targetILNS1_3genE3ELNS1_11target_archE908ELNS1_3gpuE7ELNS1_3repE0EEENS1_30default_config_static_selectorELNS0_4arch9wavefront6targetE0EEEvSR_,comdat
	.protected	_ZN7rocprim17ROCPRIM_400000_NS6detail17trampoline_kernelINS0_14default_configENS1_22reduce_config_selectorI11minmax_pairIiEEEZNS1_11reduce_implILb1ES3_N6thrust23THRUST_200600_302600_NS11hip_rocprim26transform_input_iterator_tIS6_NSA_6detail15normal_iteratorINSA_10device_ptrIiEEEE15minmax_unary_opIiEEEPS6_S6_16minmax_binary_opIiEEE10hipError_tPvRmT1_T2_T3_mT4_P12ihipStream_tbEUlT_E1_NS1_11comp_targetILNS1_3genE3ELNS1_11target_archE908ELNS1_3gpuE7ELNS1_3repE0EEENS1_30default_config_static_selectorELNS0_4arch9wavefront6targetE0EEEvSR_ ; -- Begin function _ZN7rocprim17ROCPRIM_400000_NS6detail17trampoline_kernelINS0_14default_configENS1_22reduce_config_selectorI11minmax_pairIiEEEZNS1_11reduce_implILb1ES3_N6thrust23THRUST_200600_302600_NS11hip_rocprim26transform_input_iterator_tIS6_NSA_6detail15normal_iteratorINSA_10device_ptrIiEEEE15minmax_unary_opIiEEEPS6_S6_16minmax_binary_opIiEEE10hipError_tPvRmT1_T2_T3_mT4_P12ihipStream_tbEUlT_E1_NS1_11comp_targetILNS1_3genE3ELNS1_11target_archE908ELNS1_3gpuE7ELNS1_3repE0EEENS1_30default_config_static_selectorELNS0_4arch9wavefront6targetE0EEEvSR_
	.globl	_ZN7rocprim17ROCPRIM_400000_NS6detail17trampoline_kernelINS0_14default_configENS1_22reduce_config_selectorI11minmax_pairIiEEEZNS1_11reduce_implILb1ES3_N6thrust23THRUST_200600_302600_NS11hip_rocprim26transform_input_iterator_tIS6_NSA_6detail15normal_iteratorINSA_10device_ptrIiEEEE15minmax_unary_opIiEEEPS6_S6_16minmax_binary_opIiEEE10hipError_tPvRmT1_T2_T3_mT4_P12ihipStream_tbEUlT_E1_NS1_11comp_targetILNS1_3genE3ELNS1_11target_archE908ELNS1_3gpuE7ELNS1_3repE0EEENS1_30default_config_static_selectorELNS0_4arch9wavefront6targetE0EEEvSR_
	.p2align	8
	.type	_ZN7rocprim17ROCPRIM_400000_NS6detail17trampoline_kernelINS0_14default_configENS1_22reduce_config_selectorI11minmax_pairIiEEEZNS1_11reduce_implILb1ES3_N6thrust23THRUST_200600_302600_NS11hip_rocprim26transform_input_iterator_tIS6_NSA_6detail15normal_iteratorINSA_10device_ptrIiEEEE15minmax_unary_opIiEEEPS6_S6_16minmax_binary_opIiEEE10hipError_tPvRmT1_T2_T3_mT4_P12ihipStream_tbEUlT_E1_NS1_11comp_targetILNS1_3genE3ELNS1_11target_archE908ELNS1_3gpuE7ELNS1_3repE0EEENS1_30default_config_static_selectorELNS0_4arch9wavefront6targetE0EEEvSR_,@function
_ZN7rocprim17ROCPRIM_400000_NS6detail17trampoline_kernelINS0_14default_configENS1_22reduce_config_selectorI11minmax_pairIiEEEZNS1_11reduce_implILb1ES3_N6thrust23THRUST_200600_302600_NS11hip_rocprim26transform_input_iterator_tIS6_NSA_6detail15normal_iteratorINSA_10device_ptrIiEEEE15minmax_unary_opIiEEEPS6_S6_16minmax_binary_opIiEEE10hipError_tPvRmT1_T2_T3_mT4_P12ihipStream_tbEUlT_E1_NS1_11comp_targetILNS1_3genE3ELNS1_11target_archE908ELNS1_3gpuE7ELNS1_3repE0EEENS1_30default_config_static_selectorELNS0_4arch9wavefront6targetE0EEEvSR_: ; @_ZN7rocprim17ROCPRIM_400000_NS6detail17trampoline_kernelINS0_14default_configENS1_22reduce_config_selectorI11minmax_pairIiEEEZNS1_11reduce_implILb1ES3_N6thrust23THRUST_200600_302600_NS11hip_rocprim26transform_input_iterator_tIS6_NSA_6detail15normal_iteratorINSA_10device_ptrIiEEEE15minmax_unary_opIiEEEPS6_S6_16minmax_binary_opIiEEE10hipError_tPvRmT1_T2_T3_mT4_P12ihipStream_tbEUlT_E1_NS1_11comp_targetILNS1_3genE3ELNS1_11target_archE908ELNS1_3gpuE7ELNS1_3repE0EEENS1_30default_config_static_selectorELNS0_4arch9wavefront6targetE0EEEvSR_
; %bb.0:
	.section	.rodata,"a",@progbits
	.p2align	6, 0x0
	.amdhsa_kernel _ZN7rocprim17ROCPRIM_400000_NS6detail17trampoline_kernelINS0_14default_configENS1_22reduce_config_selectorI11minmax_pairIiEEEZNS1_11reduce_implILb1ES3_N6thrust23THRUST_200600_302600_NS11hip_rocprim26transform_input_iterator_tIS6_NSA_6detail15normal_iteratorINSA_10device_ptrIiEEEE15minmax_unary_opIiEEEPS6_S6_16minmax_binary_opIiEEE10hipError_tPvRmT1_T2_T3_mT4_P12ihipStream_tbEUlT_E1_NS1_11comp_targetILNS1_3genE3ELNS1_11target_archE908ELNS1_3gpuE7ELNS1_3repE0EEENS1_30default_config_static_selectorELNS0_4arch9wavefront6targetE0EEEvSR_
		.amdhsa_group_segment_fixed_size 0
		.amdhsa_private_segment_fixed_size 0
		.amdhsa_kernarg_size 56
		.amdhsa_user_sgpr_count 2
		.amdhsa_user_sgpr_dispatch_ptr 0
		.amdhsa_user_sgpr_queue_ptr 0
		.amdhsa_user_sgpr_kernarg_segment_ptr 1
		.amdhsa_user_sgpr_dispatch_id 0
		.amdhsa_user_sgpr_kernarg_preload_length 0
		.amdhsa_user_sgpr_kernarg_preload_offset 0
		.amdhsa_user_sgpr_private_segment_size 0
		.amdhsa_wavefront_size32 1
		.amdhsa_uses_dynamic_stack 0
		.amdhsa_enable_private_segment 0
		.amdhsa_system_sgpr_workgroup_id_x 1
		.amdhsa_system_sgpr_workgroup_id_y 0
		.amdhsa_system_sgpr_workgroup_id_z 0
		.amdhsa_system_sgpr_workgroup_info 0
		.amdhsa_system_vgpr_workitem_id 0
		.amdhsa_next_free_vgpr 1
		.amdhsa_next_free_sgpr 1
		.amdhsa_named_barrier_count 0
		.amdhsa_reserve_vcc 0
		.amdhsa_float_round_mode_32 0
		.amdhsa_float_round_mode_16_64 0
		.amdhsa_float_denorm_mode_32 3
		.amdhsa_float_denorm_mode_16_64 3
		.amdhsa_fp16_overflow 0
		.amdhsa_memory_ordered 1
		.amdhsa_forward_progress 1
		.amdhsa_inst_pref_size 0
		.amdhsa_round_robin_scheduling 0
		.amdhsa_exception_fp_ieee_invalid_op 0
		.amdhsa_exception_fp_denorm_src 0
		.amdhsa_exception_fp_ieee_div_zero 0
		.amdhsa_exception_fp_ieee_overflow 0
		.amdhsa_exception_fp_ieee_underflow 0
		.amdhsa_exception_fp_ieee_inexact 0
		.amdhsa_exception_int_div_zero 0
	.end_amdhsa_kernel
	.section	.text._ZN7rocprim17ROCPRIM_400000_NS6detail17trampoline_kernelINS0_14default_configENS1_22reduce_config_selectorI11minmax_pairIiEEEZNS1_11reduce_implILb1ES3_N6thrust23THRUST_200600_302600_NS11hip_rocprim26transform_input_iterator_tIS6_NSA_6detail15normal_iteratorINSA_10device_ptrIiEEEE15minmax_unary_opIiEEEPS6_S6_16minmax_binary_opIiEEE10hipError_tPvRmT1_T2_T3_mT4_P12ihipStream_tbEUlT_E1_NS1_11comp_targetILNS1_3genE3ELNS1_11target_archE908ELNS1_3gpuE7ELNS1_3repE0EEENS1_30default_config_static_selectorELNS0_4arch9wavefront6targetE0EEEvSR_,"axG",@progbits,_ZN7rocprim17ROCPRIM_400000_NS6detail17trampoline_kernelINS0_14default_configENS1_22reduce_config_selectorI11minmax_pairIiEEEZNS1_11reduce_implILb1ES3_N6thrust23THRUST_200600_302600_NS11hip_rocprim26transform_input_iterator_tIS6_NSA_6detail15normal_iteratorINSA_10device_ptrIiEEEE15minmax_unary_opIiEEEPS6_S6_16minmax_binary_opIiEEE10hipError_tPvRmT1_T2_T3_mT4_P12ihipStream_tbEUlT_E1_NS1_11comp_targetILNS1_3genE3ELNS1_11target_archE908ELNS1_3gpuE7ELNS1_3repE0EEENS1_30default_config_static_selectorELNS0_4arch9wavefront6targetE0EEEvSR_,comdat
.Lfunc_end31:
	.size	_ZN7rocprim17ROCPRIM_400000_NS6detail17trampoline_kernelINS0_14default_configENS1_22reduce_config_selectorI11minmax_pairIiEEEZNS1_11reduce_implILb1ES3_N6thrust23THRUST_200600_302600_NS11hip_rocprim26transform_input_iterator_tIS6_NSA_6detail15normal_iteratorINSA_10device_ptrIiEEEE15minmax_unary_opIiEEEPS6_S6_16minmax_binary_opIiEEE10hipError_tPvRmT1_T2_T3_mT4_P12ihipStream_tbEUlT_E1_NS1_11comp_targetILNS1_3genE3ELNS1_11target_archE908ELNS1_3gpuE7ELNS1_3repE0EEENS1_30default_config_static_selectorELNS0_4arch9wavefront6targetE0EEEvSR_, .Lfunc_end31-_ZN7rocprim17ROCPRIM_400000_NS6detail17trampoline_kernelINS0_14default_configENS1_22reduce_config_selectorI11minmax_pairIiEEEZNS1_11reduce_implILb1ES3_N6thrust23THRUST_200600_302600_NS11hip_rocprim26transform_input_iterator_tIS6_NSA_6detail15normal_iteratorINSA_10device_ptrIiEEEE15minmax_unary_opIiEEEPS6_S6_16minmax_binary_opIiEEE10hipError_tPvRmT1_T2_T3_mT4_P12ihipStream_tbEUlT_E1_NS1_11comp_targetILNS1_3genE3ELNS1_11target_archE908ELNS1_3gpuE7ELNS1_3repE0EEENS1_30default_config_static_selectorELNS0_4arch9wavefront6targetE0EEEvSR_
                                        ; -- End function
	.set _ZN7rocprim17ROCPRIM_400000_NS6detail17trampoline_kernelINS0_14default_configENS1_22reduce_config_selectorI11minmax_pairIiEEEZNS1_11reduce_implILb1ES3_N6thrust23THRUST_200600_302600_NS11hip_rocprim26transform_input_iterator_tIS6_NSA_6detail15normal_iteratorINSA_10device_ptrIiEEEE15minmax_unary_opIiEEEPS6_S6_16minmax_binary_opIiEEE10hipError_tPvRmT1_T2_T3_mT4_P12ihipStream_tbEUlT_E1_NS1_11comp_targetILNS1_3genE3ELNS1_11target_archE908ELNS1_3gpuE7ELNS1_3repE0EEENS1_30default_config_static_selectorELNS0_4arch9wavefront6targetE0EEEvSR_.num_vgpr, 0
	.set _ZN7rocprim17ROCPRIM_400000_NS6detail17trampoline_kernelINS0_14default_configENS1_22reduce_config_selectorI11minmax_pairIiEEEZNS1_11reduce_implILb1ES3_N6thrust23THRUST_200600_302600_NS11hip_rocprim26transform_input_iterator_tIS6_NSA_6detail15normal_iteratorINSA_10device_ptrIiEEEE15minmax_unary_opIiEEEPS6_S6_16minmax_binary_opIiEEE10hipError_tPvRmT1_T2_T3_mT4_P12ihipStream_tbEUlT_E1_NS1_11comp_targetILNS1_3genE3ELNS1_11target_archE908ELNS1_3gpuE7ELNS1_3repE0EEENS1_30default_config_static_selectorELNS0_4arch9wavefront6targetE0EEEvSR_.num_agpr, 0
	.set _ZN7rocprim17ROCPRIM_400000_NS6detail17trampoline_kernelINS0_14default_configENS1_22reduce_config_selectorI11minmax_pairIiEEEZNS1_11reduce_implILb1ES3_N6thrust23THRUST_200600_302600_NS11hip_rocprim26transform_input_iterator_tIS6_NSA_6detail15normal_iteratorINSA_10device_ptrIiEEEE15minmax_unary_opIiEEEPS6_S6_16minmax_binary_opIiEEE10hipError_tPvRmT1_T2_T3_mT4_P12ihipStream_tbEUlT_E1_NS1_11comp_targetILNS1_3genE3ELNS1_11target_archE908ELNS1_3gpuE7ELNS1_3repE0EEENS1_30default_config_static_selectorELNS0_4arch9wavefront6targetE0EEEvSR_.numbered_sgpr, 0
	.set _ZN7rocprim17ROCPRIM_400000_NS6detail17trampoline_kernelINS0_14default_configENS1_22reduce_config_selectorI11minmax_pairIiEEEZNS1_11reduce_implILb1ES3_N6thrust23THRUST_200600_302600_NS11hip_rocprim26transform_input_iterator_tIS6_NSA_6detail15normal_iteratorINSA_10device_ptrIiEEEE15minmax_unary_opIiEEEPS6_S6_16minmax_binary_opIiEEE10hipError_tPvRmT1_T2_T3_mT4_P12ihipStream_tbEUlT_E1_NS1_11comp_targetILNS1_3genE3ELNS1_11target_archE908ELNS1_3gpuE7ELNS1_3repE0EEENS1_30default_config_static_selectorELNS0_4arch9wavefront6targetE0EEEvSR_.num_named_barrier, 0
	.set _ZN7rocprim17ROCPRIM_400000_NS6detail17trampoline_kernelINS0_14default_configENS1_22reduce_config_selectorI11minmax_pairIiEEEZNS1_11reduce_implILb1ES3_N6thrust23THRUST_200600_302600_NS11hip_rocprim26transform_input_iterator_tIS6_NSA_6detail15normal_iteratorINSA_10device_ptrIiEEEE15minmax_unary_opIiEEEPS6_S6_16minmax_binary_opIiEEE10hipError_tPvRmT1_T2_T3_mT4_P12ihipStream_tbEUlT_E1_NS1_11comp_targetILNS1_3genE3ELNS1_11target_archE908ELNS1_3gpuE7ELNS1_3repE0EEENS1_30default_config_static_selectorELNS0_4arch9wavefront6targetE0EEEvSR_.private_seg_size, 0
	.set _ZN7rocprim17ROCPRIM_400000_NS6detail17trampoline_kernelINS0_14default_configENS1_22reduce_config_selectorI11minmax_pairIiEEEZNS1_11reduce_implILb1ES3_N6thrust23THRUST_200600_302600_NS11hip_rocprim26transform_input_iterator_tIS6_NSA_6detail15normal_iteratorINSA_10device_ptrIiEEEE15minmax_unary_opIiEEEPS6_S6_16minmax_binary_opIiEEE10hipError_tPvRmT1_T2_T3_mT4_P12ihipStream_tbEUlT_E1_NS1_11comp_targetILNS1_3genE3ELNS1_11target_archE908ELNS1_3gpuE7ELNS1_3repE0EEENS1_30default_config_static_selectorELNS0_4arch9wavefront6targetE0EEEvSR_.uses_vcc, 0
	.set _ZN7rocprim17ROCPRIM_400000_NS6detail17trampoline_kernelINS0_14default_configENS1_22reduce_config_selectorI11minmax_pairIiEEEZNS1_11reduce_implILb1ES3_N6thrust23THRUST_200600_302600_NS11hip_rocprim26transform_input_iterator_tIS6_NSA_6detail15normal_iteratorINSA_10device_ptrIiEEEE15minmax_unary_opIiEEEPS6_S6_16minmax_binary_opIiEEE10hipError_tPvRmT1_T2_T3_mT4_P12ihipStream_tbEUlT_E1_NS1_11comp_targetILNS1_3genE3ELNS1_11target_archE908ELNS1_3gpuE7ELNS1_3repE0EEENS1_30default_config_static_selectorELNS0_4arch9wavefront6targetE0EEEvSR_.uses_flat_scratch, 0
	.set _ZN7rocprim17ROCPRIM_400000_NS6detail17trampoline_kernelINS0_14default_configENS1_22reduce_config_selectorI11minmax_pairIiEEEZNS1_11reduce_implILb1ES3_N6thrust23THRUST_200600_302600_NS11hip_rocprim26transform_input_iterator_tIS6_NSA_6detail15normal_iteratorINSA_10device_ptrIiEEEE15minmax_unary_opIiEEEPS6_S6_16minmax_binary_opIiEEE10hipError_tPvRmT1_T2_T3_mT4_P12ihipStream_tbEUlT_E1_NS1_11comp_targetILNS1_3genE3ELNS1_11target_archE908ELNS1_3gpuE7ELNS1_3repE0EEENS1_30default_config_static_selectorELNS0_4arch9wavefront6targetE0EEEvSR_.has_dyn_sized_stack, 0
	.set _ZN7rocprim17ROCPRIM_400000_NS6detail17trampoline_kernelINS0_14default_configENS1_22reduce_config_selectorI11minmax_pairIiEEEZNS1_11reduce_implILb1ES3_N6thrust23THRUST_200600_302600_NS11hip_rocprim26transform_input_iterator_tIS6_NSA_6detail15normal_iteratorINSA_10device_ptrIiEEEE15minmax_unary_opIiEEEPS6_S6_16minmax_binary_opIiEEE10hipError_tPvRmT1_T2_T3_mT4_P12ihipStream_tbEUlT_E1_NS1_11comp_targetILNS1_3genE3ELNS1_11target_archE908ELNS1_3gpuE7ELNS1_3repE0EEENS1_30default_config_static_selectorELNS0_4arch9wavefront6targetE0EEEvSR_.has_recursion, 0
	.set _ZN7rocprim17ROCPRIM_400000_NS6detail17trampoline_kernelINS0_14default_configENS1_22reduce_config_selectorI11minmax_pairIiEEEZNS1_11reduce_implILb1ES3_N6thrust23THRUST_200600_302600_NS11hip_rocprim26transform_input_iterator_tIS6_NSA_6detail15normal_iteratorINSA_10device_ptrIiEEEE15minmax_unary_opIiEEEPS6_S6_16minmax_binary_opIiEEE10hipError_tPvRmT1_T2_T3_mT4_P12ihipStream_tbEUlT_E1_NS1_11comp_targetILNS1_3genE3ELNS1_11target_archE908ELNS1_3gpuE7ELNS1_3repE0EEENS1_30default_config_static_selectorELNS0_4arch9wavefront6targetE0EEEvSR_.has_indirect_call, 0
	.section	.AMDGPU.csdata,"",@progbits
; Kernel info:
; codeLenInByte = 0
; TotalNumSgprs: 0
; NumVgprs: 0
; ScratchSize: 0
; MemoryBound: 0
; FloatMode: 240
; IeeeMode: 1
; LDSByteSize: 0 bytes/workgroup (compile time only)
; SGPRBlocks: 0
; VGPRBlocks: 0
; NumSGPRsForWavesPerEU: 1
; NumVGPRsForWavesPerEU: 1
; NamedBarCnt: 0
; Occupancy: 16
; WaveLimiterHint : 0
; COMPUTE_PGM_RSRC2:SCRATCH_EN: 0
; COMPUTE_PGM_RSRC2:USER_SGPR: 2
; COMPUTE_PGM_RSRC2:TRAP_HANDLER: 0
; COMPUTE_PGM_RSRC2:TGID_X_EN: 1
; COMPUTE_PGM_RSRC2:TGID_Y_EN: 0
; COMPUTE_PGM_RSRC2:TGID_Z_EN: 0
; COMPUTE_PGM_RSRC2:TIDIG_COMP_CNT: 0
	.section	.text._ZN7rocprim17ROCPRIM_400000_NS6detail17trampoline_kernelINS0_14default_configENS1_22reduce_config_selectorI11minmax_pairIiEEEZNS1_11reduce_implILb1ES3_N6thrust23THRUST_200600_302600_NS11hip_rocprim26transform_input_iterator_tIS6_NSA_6detail15normal_iteratorINSA_10device_ptrIiEEEE15minmax_unary_opIiEEEPS6_S6_16minmax_binary_opIiEEE10hipError_tPvRmT1_T2_T3_mT4_P12ihipStream_tbEUlT_E1_NS1_11comp_targetILNS1_3genE2ELNS1_11target_archE906ELNS1_3gpuE6ELNS1_3repE0EEENS1_30default_config_static_selectorELNS0_4arch9wavefront6targetE0EEEvSR_,"axG",@progbits,_ZN7rocprim17ROCPRIM_400000_NS6detail17trampoline_kernelINS0_14default_configENS1_22reduce_config_selectorI11minmax_pairIiEEEZNS1_11reduce_implILb1ES3_N6thrust23THRUST_200600_302600_NS11hip_rocprim26transform_input_iterator_tIS6_NSA_6detail15normal_iteratorINSA_10device_ptrIiEEEE15minmax_unary_opIiEEEPS6_S6_16minmax_binary_opIiEEE10hipError_tPvRmT1_T2_T3_mT4_P12ihipStream_tbEUlT_E1_NS1_11comp_targetILNS1_3genE2ELNS1_11target_archE906ELNS1_3gpuE6ELNS1_3repE0EEENS1_30default_config_static_selectorELNS0_4arch9wavefront6targetE0EEEvSR_,comdat
	.protected	_ZN7rocprim17ROCPRIM_400000_NS6detail17trampoline_kernelINS0_14default_configENS1_22reduce_config_selectorI11minmax_pairIiEEEZNS1_11reduce_implILb1ES3_N6thrust23THRUST_200600_302600_NS11hip_rocprim26transform_input_iterator_tIS6_NSA_6detail15normal_iteratorINSA_10device_ptrIiEEEE15minmax_unary_opIiEEEPS6_S6_16minmax_binary_opIiEEE10hipError_tPvRmT1_T2_T3_mT4_P12ihipStream_tbEUlT_E1_NS1_11comp_targetILNS1_3genE2ELNS1_11target_archE906ELNS1_3gpuE6ELNS1_3repE0EEENS1_30default_config_static_selectorELNS0_4arch9wavefront6targetE0EEEvSR_ ; -- Begin function _ZN7rocprim17ROCPRIM_400000_NS6detail17trampoline_kernelINS0_14default_configENS1_22reduce_config_selectorI11minmax_pairIiEEEZNS1_11reduce_implILb1ES3_N6thrust23THRUST_200600_302600_NS11hip_rocprim26transform_input_iterator_tIS6_NSA_6detail15normal_iteratorINSA_10device_ptrIiEEEE15minmax_unary_opIiEEEPS6_S6_16minmax_binary_opIiEEE10hipError_tPvRmT1_T2_T3_mT4_P12ihipStream_tbEUlT_E1_NS1_11comp_targetILNS1_3genE2ELNS1_11target_archE906ELNS1_3gpuE6ELNS1_3repE0EEENS1_30default_config_static_selectorELNS0_4arch9wavefront6targetE0EEEvSR_
	.globl	_ZN7rocprim17ROCPRIM_400000_NS6detail17trampoline_kernelINS0_14default_configENS1_22reduce_config_selectorI11minmax_pairIiEEEZNS1_11reduce_implILb1ES3_N6thrust23THRUST_200600_302600_NS11hip_rocprim26transform_input_iterator_tIS6_NSA_6detail15normal_iteratorINSA_10device_ptrIiEEEE15minmax_unary_opIiEEEPS6_S6_16minmax_binary_opIiEEE10hipError_tPvRmT1_T2_T3_mT4_P12ihipStream_tbEUlT_E1_NS1_11comp_targetILNS1_3genE2ELNS1_11target_archE906ELNS1_3gpuE6ELNS1_3repE0EEENS1_30default_config_static_selectorELNS0_4arch9wavefront6targetE0EEEvSR_
	.p2align	8
	.type	_ZN7rocprim17ROCPRIM_400000_NS6detail17trampoline_kernelINS0_14default_configENS1_22reduce_config_selectorI11minmax_pairIiEEEZNS1_11reduce_implILb1ES3_N6thrust23THRUST_200600_302600_NS11hip_rocprim26transform_input_iterator_tIS6_NSA_6detail15normal_iteratorINSA_10device_ptrIiEEEE15minmax_unary_opIiEEEPS6_S6_16minmax_binary_opIiEEE10hipError_tPvRmT1_T2_T3_mT4_P12ihipStream_tbEUlT_E1_NS1_11comp_targetILNS1_3genE2ELNS1_11target_archE906ELNS1_3gpuE6ELNS1_3repE0EEENS1_30default_config_static_selectorELNS0_4arch9wavefront6targetE0EEEvSR_,@function
_ZN7rocprim17ROCPRIM_400000_NS6detail17trampoline_kernelINS0_14default_configENS1_22reduce_config_selectorI11minmax_pairIiEEEZNS1_11reduce_implILb1ES3_N6thrust23THRUST_200600_302600_NS11hip_rocprim26transform_input_iterator_tIS6_NSA_6detail15normal_iteratorINSA_10device_ptrIiEEEE15minmax_unary_opIiEEEPS6_S6_16minmax_binary_opIiEEE10hipError_tPvRmT1_T2_T3_mT4_P12ihipStream_tbEUlT_E1_NS1_11comp_targetILNS1_3genE2ELNS1_11target_archE906ELNS1_3gpuE6ELNS1_3repE0EEENS1_30default_config_static_selectorELNS0_4arch9wavefront6targetE0EEEvSR_: ; @_ZN7rocprim17ROCPRIM_400000_NS6detail17trampoline_kernelINS0_14default_configENS1_22reduce_config_selectorI11minmax_pairIiEEEZNS1_11reduce_implILb1ES3_N6thrust23THRUST_200600_302600_NS11hip_rocprim26transform_input_iterator_tIS6_NSA_6detail15normal_iteratorINSA_10device_ptrIiEEEE15minmax_unary_opIiEEEPS6_S6_16minmax_binary_opIiEEE10hipError_tPvRmT1_T2_T3_mT4_P12ihipStream_tbEUlT_E1_NS1_11comp_targetILNS1_3genE2ELNS1_11target_archE906ELNS1_3gpuE6ELNS1_3repE0EEENS1_30default_config_static_selectorELNS0_4arch9wavefront6targetE0EEEvSR_
; %bb.0:
	.section	.rodata,"a",@progbits
	.p2align	6, 0x0
	.amdhsa_kernel _ZN7rocprim17ROCPRIM_400000_NS6detail17trampoline_kernelINS0_14default_configENS1_22reduce_config_selectorI11minmax_pairIiEEEZNS1_11reduce_implILb1ES3_N6thrust23THRUST_200600_302600_NS11hip_rocprim26transform_input_iterator_tIS6_NSA_6detail15normal_iteratorINSA_10device_ptrIiEEEE15minmax_unary_opIiEEEPS6_S6_16minmax_binary_opIiEEE10hipError_tPvRmT1_T2_T3_mT4_P12ihipStream_tbEUlT_E1_NS1_11comp_targetILNS1_3genE2ELNS1_11target_archE906ELNS1_3gpuE6ELNS1_3repE0EEENS1_30default_config_static_selectorELNS0_4arch9wavefront6targetE0EEEvSR_
		.amdhsa_group_segment_fixed_size 0
		.amdhsa_private_segment_fixed_size 0
		.amdhsa_kernarg_size 56
		.amdhsa_user_sgpr_count 2
		.amdhsa_user_sgpr_dispatch_ptr 0
		.amdhsa_user_sgpr_queue_ptr 0
		.amdhsa_user_sgpr_kernarg_segment_ptr 1
		.amdhsa_user_sgpr_dispatch_id 0
		.amdhsa_user_sgpr_kernarg_preload_length 0
		.amdhsa_user_sgpr_kernarg_preload_offset 0
		.amdhsa_user_sgpr_private_segment_size 0
		.amdhsa_wavefront_size32 1
		.amdhsa_uses_dynamic_stack 0
		.amdhsa_enable_private_segment 0
		.amdhsa_system_sgpr_workgroup_id_x 1
		.amdhsa_system_sgpr_workgroup_id_y 0
		.amdhsa_system_sgpr_workgroup_id_z 0
		.amdhsa_system_sgpr_workgroup_info 0
		.amdhsa_system_vgpr_workitem_id 0
		.amdhsa_next_free_vgpr 1
		.amdhsa_next_free_sgpr 1
		.amdhsa_named_barrier_count 0
		.amdhsa_reserve_vcc 0
		.amdhsa_float_round_mode_32 0
		.amdhsa_float_round_mode_16_64 0
		.amdhsa_float_denorm_mode_32 3
		.amdhsa_float_denorm_mode_16_64 3
		.amdhsa_fp16_overflow 0
		.amdhsa_memory_ordered 1
		.amdhsa_forward_progress 1
		.amdhsa_inst_pref_size 0
		.amdhsa_round_robin_scheduling 0
		.amdhsa_exception_fp_ieee_invalid_op 0
		.amdhsa_exception_fp_denorm_src 0
		.amdhsa_exception_fp_ieee_div_zero 0
		.amdhsa_exception_fp_ieee_overflow 0
		.amdhsa_exception_fp_ieee_underflow 0
		.amdhsa_exception_fp_ieee_inexact 0
		.amdhsa_exception_int_div_zero 0
	.end_amdhsa_kernel
	.section	.text._ZN7rocprim17ROCPRIM_400000_NS6detail17trampoline_kernelINS0_14default_configENS1_22reduce_config_selectorI11minmax_pairIiEEEZNS1_11reduce_implILb1ES3_N6thrust23THRUST_200600_302600_NS11hip_rocprim26transform_input_iterator_tIS6_NSA_6detail15normal_iteratorINSA_10device_ptrIiEEEE15minmax_unary_opIiEEEPS6_S6_16minmax_binary_opIiEEE10hipError_tPvRmT1_T2_T3_mT4_P12ihipStream_tbEUlT_E1_NS1_11comp_targetILNS1_3genE2ELNS1_11target_archE906ELNS1_3gpuE6ELNS1_3repE0EEENS1_30default_config_static_selectorELNS0_4arch9wavefront6targetE0EEEvSR_,"axG",@progbits,_ZN7rocprim17ROCPRIM_400000_NS6detail17trampoline_kernelINS0_14default_configENS1_22reduce_config_selectorI11minmax_pairIiEEEZNS1_11reduce_implILb1ES3_N6thrust23THRUST_200600_302600_NS11hip_rocprim26transform_input_iterator_tIS6_NSA_6detail15normal_iteratorINSA_10device_ptrIiEEEE15minmax_unary_opIiEEEPS6_S6_16minmax_binary_opIiEEE10hipError_tPvRmT1_T2_T3_mT4_P12ihipStream_tbEUlT_E1_NS1_11comp_targetILNS1_3genE2ELNS1_11target_archE906ELNS1_3gpuE6ELNS1_3repE0EEENS1_30default_config_static_selectorELNS0_4arch9wavefront6targetE0EEEvSR_,comdat
.Lfunc_end32:
	.size	_ZN7rocprim17ROCPRIM_400000_NS6detail17trampoline_kernelINS0_14default_configENS1_22reduce_config_selectorI11minmax_pairIiEEEZNS1_11reduce_implILb1ES3_N6thrust23THRUST_200600_302600_NS11hip_rocprim26transform_input_iterator_tIS6_NSA_6detail15normal_iteratorINSA_10device_ptrIiEEEE15minmax_unary_opIiEEEPS6_S6_16minmax_binary_opIiEEE10hipError_tPvRmT1_T2_T3_mT4_P12ihipStream_tbEUlT_E1_NS1_11comp_targetILNS1_3genE2ELNS1_11target_archE906ELNS1_3gpuE6ELNS1_3repE0EEENS1_30default_config_static_selectorELNS0_4arch9wavefront6targetE0EEEvSR_, .Lfunc_end32-_ZN7rocprim17ROCPRIM_400000_NS6detail17trampoline_kernelINS0_14default_configENS1_22reduce_config_selectorI11minmax_pairIiEEEZNS1_11reduce_implILb1ES3_N6thrust23THRUST_200600_302600_NS11hip_rocprim26transform_input_iterator_tIS6_NSA_6detail15normal_iteratorINSA_10device_ptrIiEEEE15minmax_unary_opIiEEEPS6_S6_16minmax_binary_opIiEEE10hipError_tPvRmT1_T2_T3_mT4_P12ihipStream_tbEUlT_E1_NS1_11comp_targetILNS1_3genE2ELNS1_11target_archE906ELNS1_3gpuE6ELNS1_3repE0EEENS1_30default_config_static_selectorELNS0_4arch9wavefront6targetE0EEEvSR_
                                        ; -- End function
	.set _ZN7rocprim17ROCPRIM_400000_NS6detail17trampoline_kernelINS0_14default_configENS1_22reduce_config_selectorI11minmax_pairIiEEEZNS1_11reduce_implILb1ES3_N6thrust23THRUST_200600_302600_NS11hip_rocprim26transform_input_iterator_tIS6_NSA_6detail15normal_iteratorINSA_10device_ptrIiEEEE15minmax_unary_opIiEEEPS6_S6_16minmax_binary_opIiEEE10hipError_tPvRmT1_T2_T3_mT4_P12ihipStream_tbEUlT_E1_NS1_11comp_targetILNS1_3genE2ELNS1_11target_archE906ELNS1_3gpuE6ELNS1_3repE0EEENS1_30default_config_static_selectorELNS0_4arch9wavefront6targetE0EEEvSR_.num_vgpr, 0
	.set _ZN7rocprim17ROCPRIM_400000_NS6detail17trampoline_kernelINS0_14default_configENS1_22reduce_config_selectorI11minmax_pairIiEEEZNS1_11reduce_implILb1ES3_N6thrust23THRUST_200600_302600_NS11hip_rocprim26transform_input_iterator_tIS6_NSA_6detail15normal_iteratorINSA_10device_ptrIiEEEE15minmax_unary_opIiEEEPS6_S6_16minmax_binary_opIiEEE10hipError_tPvRmT1_T2_T3_mT4_P12ihipStream_tbEUlT_E1_NS1_11comp_targetILNS1_3genE2ELNS1_11target_archE906ELNS1_3gpuE6ELNS1_3repE0EEENS1_30default_config_static_selectorELNS0_4arch9wavefront6targetE0EEEvSR_.num_agpr, 0
	.set _ZN7rocprim17ROCPRIM_400000_NS6detail17trampoline_kernelINS0_14default_configENS1_22reduce_config_selectorI11minmax_pairIiEEEZNS1_11reduce_implILb1ES3_N6thrust23THRUST_200600_302600_NS11hip_rocprim26transform_input_iterator_tIS6_NSA_6detail15normal_iteratorINSA_10device_ptrIiEEEE15minmax_unary_opIiEEEPS6_S6_16minmax_binary_opIiEEE10hipError_tPvRmT1_T2_T3_mT4_P12ihipStream_tbEUlT_E1_NS1_11comp_targetILNS1_3genE2ELNS1_11target_archE906ELNS1_3gpuE6ELNS1_3repE0EEENS1_30default_config_static_selectorELNS0_4arch9wavefront6targetE0EEEvSR_.numbered_sgpr, 0
	.set _ZN7rocprim17ROCPRIM_400000_NS6detail17trampoline_kernelINS0_14default_configENS1_22reduce_config_selectorI11minmax_pairIiEEEZNS1_11reduce_implILb1ES3_N6thrust23THRUST_200600_302600_NS11hip_rocprim26transform_input_iterator_tIS6_NSA_6detail15normal_iteratorINSA_10device_ptrIiEEEE15minmax_unary_opIiEEEPS6_S6_16minmax_binary_opIiEEE10hipError_tPvRmT1_T2_T3_mT4_P12ihipStream_tbEUlT_E1_NS1_11comp_targetILNS1_3genE2ELNS1_11target_archE906ELNS1_3gpuE6ELNS1_3repE0EEENS1_30default_config_static_selectorELNS0_4arch9wavefront6targetE0EEEvSR_.num_named_barrier, 0
	.set _ZN7rocprim17ROCPRIM_400000_NS6detail17trampoline_kernelINS0_14default_configENS1_22reduce_config_selectorI11minmax_pairIiEEEZNS1_11reduce_implILb1ES3_N6thrust23THRUST_200600_302600_NS11hip_rocprim26transform_input_iterator_tIS6_NSA_6detail15normal_iteratorINSA_10device_ptrIiEEEE15minmax_unary_opIiEEEPS6_S6_16minmax_binary_opIiEEE10hipError_tPvRmT1_T2_T3_mT4_P12ihipStream_tbEUlT_E1_NS1_11comp_targetILNS1_3genE2ELNS1_11target_archE906ELNS1_3gpuE6ELNS1_3repE0EEENS1_30default_config_static_selectorELNS0_4arch9wavefront6targetE0EEEvSR_.private_seg_size, 0
	.set _ZN7rocprim17ROCPRIM_400000_NS6detail17trampoline_kernelINS0_14default_configENS1_22reduce_config_selectorI11minmax_pairIiEEEZNS1_11reduce_implILb1ES3_N6thrust23THRUST_200600_302600_NS11hip_rocprim26transform_input_iterator_tIS6_NSA_6detail15normal_iteratorINSA_10device_ptrIiEEEE15minmax_unary_opIiEEEPS6_S6_16minmax_binary_opIiEEE10hipError_tPvRmT1_T2_T3_mT4_P12ihipStream_tbEUlT_E1_NS1_11comp_targetILNS1_3genE2ELNS1_11target_archE906ELNS1_3gpuE6ELNS1_3repE0EEENS1_30default_config_static_selectorELNS0_4arch9wavefront6targetE0EEEvSR_.uses_vcc, 0
	.set _ZN7rocprim17ROCPRIM_400000_NS6detail17trampoline_kernelINS0_14default_configENS1_22reduce_config_selectorI11minmax_pairIiEEEZNS1_11reduce_implILb1ES3_N6thrust23THRUST_200600_302600_NS11hip_rocprim26transform_input_iterator_tIS6_NSA_6detail15normal_iteratorINSA_10device_ptrIiEEEE15minmax_unary_opIiEEEPS6_S6_16minmax_binary_opIiEEE10hipError_tPvRmT1_T2_T3_mT4_P12ihipStream_tbEUlT_E1_NS1_11comp_targetILNS1_3genE2ELNS1_11target_archE906ELNS1_3gpuE6ELNS1_3repE0EEENS1_30default_config_static_selectorELNS0_4arch9wavefront6targetE0EEEvSR_.uses_flat_scratch, 0
	.set _ZN7rocprim17ROCPRIM_400000_NS6detail17trampoline_kernelINS0_14default_configENS1_22reduce_config_selectorI11minmax_pairIiEEEZNS1_11reduce_implILb1ES3_N6thrust23THRUST_200600_302600_NS11hip_rocprim26transform_input_iterator_tIS6_NSA_6detail15normal_iteratorINSA_10device_ptrIiEEEE15minmax_unary_opIiEEEPS6_S6_16minmax_binary_opIiEEE10hipError_tPvRmT1_T2_T3_mT4_P12ihipStream_tbEUlT_E1_NS1_11comp_targetILNS1_3genE2ELNS1_11target_archE906ELNS1_3gpuE6ELNS1_3repE0EEENS1_30default_config_static_selectorELNS0_4arch9wavefront6targetE0EEEvSR_.has_dyn_sized_stack, 0
	.set _ZN7rocprim17ROCPRIM_400000_NS6detail17trampoline_kernelINS0_14default_configENS1_22reduce_config_selectorI11minmax_pairIiEEEZNS1_11reduce_implILb1ES3_N6thrust23THRUST_200600_302600_NS11hip_rocprim26transform_input_iterator_tIS6_NSA_6detail15normal_iteratorINSA_10device_ptrIiEEEE15minmax_unary_opIiEEEPS6_S6_16minmax_binary_opIiEEE10hipError_tPvRmT1_T2_T3_mT4_P12ihipStream_tbEUlT_E1_NS1_11comp_targetILNS1_3genE2ELNS1_11target_archE906ELNS1_3gpuE6ELNS1_3repE0EEENS1_30default_config_static_selectorELNS0_4arch9wavefront6targetE0EEEvSR_.has_recursion, 0
	.set _ZN7rocprim17ROCPRIM_400000_NS6detail17trampoline_kernelINS0_14default_configENS1_22reduce_config_selectorI11minmax_pairIiEEEZNS1_11reduce_implILb1ES3_N6thrust23THRUST_200600_302600_NS11hip_rocprim26transform_input_iterator_tIS6_NSA_6detail15normal_iteratorINSA_10device_ptrIiEEEE15minmax_unary_opIiEEEPS6_S6_16minmax_binary_opIiEEE10hipError_tPvRmT1_T2_T3_mT4_P12ihipStream_tbEUlT_E1_NS1_11comp_targetILNS1_3genE2ELNS1_11target_archE906ELNS1_3gpuE6ELNS1_3repE0EEENS1_30default_config_static_selectorELNS0_4arch9wavefront6targetE0EEEvSR_.has_indirect_call, 0
	.section	.AMDGPU.csdata,"",@progbits
; Kernel info:
; codeLenInByte = 0
; TotalNumSgprs: 0
; NumVgprs: 0
; ScratchSize: 0
; MemoryBound: 0
; FloatMode: 240
; IeeeMode: 1
; LDSByteSize: 0 bytes/workgroup (compile time only)
; SGPRBlocks: 0
; VGPRBlocks: 0
; NumSGPRsForWavesPerEU: 1
; NumVGPRsForWavesPerEU: 1
; NamedBarCnt: 0
; Occupancy: 16
; WaveLimiterHint : 0
; COMPUTE_PGM_RSRC2:SCRATCH_EN: 0
; COMPUTE_PGM_RSRC2:USER_SGPR: 2
; COMPUTE_PGM_RSRC2:TRAP_HANDLER: 0
; COMPUTE_PGM_RSRC2:TGID_X_EN: 1
; COMPUTE_PGM_RSRC2:TGID_Y_EN: 0
; COMPUTE_PGM_RSRC2:TGID_Z_EN: 0
; COMPUTE_PGM_RSRC2:TIDIG_COMP_CNT: 0
	.section	.text._ZN7rocprim17ROCPRIM_400000_NS6detail17trampoline_kernelINS0_14default_configENS1_22reduce_config_selectorI11minmax_pairIiEEEZNS1_11reduce_implILb1ES3_N6thrust23THRUST_200600_302600_NS11hip_rocprim26transform_input_iterator_tIS6_NSA_6detail15normal_iteratorINSA_10device_ptrIiEEEE15minmax_unary_opIiEEEPS6_S6_16minmax_binary_opIiEEE10hipError_tPvRmT1_T2_T3_mT4_P12ihipStream_tbEUlT_E1_NS1_11comp_targetILNS1_3genE10ELNS1_11target_archE1201ELNS1_3gpuE5ELNS1_3repE0EEENS1_30default_config_static_selectorELNS0_4arch9wavefront6targetE0EEEvSR_,"axG",@progbits,_ZN7rocprim17ROCPRIM_400000_NS6detail17trampoline_kernelINS0_14default_configENS1_22reduce_config_selectorI11minmax_pairIiEEEZNS1_11reduce_implILb1ES3_N6thrust23THRUST_200600_302600_NS11hip_rocprim26transform_input_iterator_tIS6_NSA_6detail15normal_iteratorINSA_10device_ptrIiEEEE15minmax_unary_opIiEEEPS6_S6_16minmax_binary_opIiEEE10hipError_tPvRmT1_T2_T3_mT4_P12ihipStream_tbEUlT_E1_NS1_11comp_targetILNS1_3genE10ELNS1_11target_archE1201ELNS1_3gpuE5ELNS1_3repE0EEENS1_30default_config_static_selectorELNS0_4arch9wavefront6targetE0EEEvSR_,comdat
	.protected	_ZN7rocprim17ROCPRIM_400000_NS6detail17trampoline_kernelINS0_14default_configENS1_22reduce_config_selectorI11minmax_pairIiEEEZNS1_11reduce_implILb1ES3_N6thrust23THRUST_200600_302600_NS11hip_rocprim26transform_input_iterator_tIS6_NSA_6detail15normal_iteratorINSA_10device_ptrIiEEEE15minmax_unary_opIiEEEPS6_S6_16minmax_binary_opIiEEE10hipError_tPvRmT1_T2_T3_mT4_P12ihipStream_tbEUlT_E1_NS1_11comp_targetILNS1_3genE10ELNS1_11target_archE1201ELNS1_3gpuE5ELNS1_3repE0EEENS1_30default_config_static_selectorELNS0_4arch9wavefront6targetE0EEEvSR_ ; -- Begin function _ZN7rocprim17ROCPRIM_400000_NS6detail17trampoline_kernelINS0_14default_configENS1_22reduce_config_selectorI11minmax_pairIiEEEZNS1_11reduce_implILb1ES3_N6thrust23THRUST_200600_302600_NS11hip_rocprim26transform_input_iterator_tIS6_NSA_6detail15normal_iteratorINSA_10device_ptrIiEEEE15minmax_unary_opIiEEEPS6_S6_16minmax_binary_opIiEEE10hipError_tPvRmT1_T2_T3_mT4_P12ihipStream_tbEUlT_E1_NS1_11comp_targetILNS1_3genE10ELNS1_11target_archE1201ELNS1_3gpuE5ELNS1_3repE0EEENS1_30default_config_static_selectorELNS0_4arch9wavefront6targetE0EEEvSR_
	.globl	_ZN7rocprim17ROCPRIM_400000_NS6detail17trampoline_kernelINS0_14default_configENS1_22reduce_config_selectorI11minmax_pairIiEEEZNS1_11reduce_implILb1ES3_N6thrust23THRUST_200600_302600_NS11hip_rocprim26transform_input_iterator_tIS6_NSA_6detail15normal_iteratorINSA_10device_ptrIiEEEE15minmax_unary_opIiEEEPS6_S6_16minmax_binary_opIiEEE10hipError_tPvRmT1_T2_T3_mT4_P12ihipStream_tbEUlT_E1_NS1_11comp_targetILNS1_3genE10ELNS1_11target_archE1201ELNS1_3gpuE5ELNS1_3repE0EEENS1_30default_config_static_selectorELNS0_4arch9wavefront6targetE0EEEvSR_
	.p2align	8
	.type	_ZN7rocprim17ROCPRIM_400000_NS6detail17trampoline_kernelINS0_14default_configENS1_22reduce_config_selectorI11minmax_pairIiEEEZNS1_11reduce_implILb1ES3_N6thrust23THRUST_200600_302600_NS11hip_rocprim26transform_input_iterator_tIS6_NSA_6detail15normal_iteratorINSA_10device_ptrIiEEEE15minmax_unary_opIiEEEPS6_S6_16minmax_binary_opIiEEE10hipError_tPvRmT1_T2_T3_mT4_P12ihipStream_tbEUlT_E1_NS1_11comp_targetILNS1_3genE10ELNS1_11target_archE1201ELNS1_3gpuE5ELNS1_3repE0EEENS1_30default_config_static_selectorELNS0_4arch9wavefront6targetE0EEEvSR_,@function
_ZN7rocprim17ROCPRIM_400000_NS6detail17trampoline_kernelINS0_14default_configENS1_22reduce_config_selectorI11minmax_pairIiEEEZNS1_11reduce_implILb1ES3_N6thrust23THRUST_200600_302600_NS11hip_rocprim26transform_input_iterator_tIS6_NSA_6detail15normal_iteratorINSA_10device_ptrIiEEEE15minmax_unary_opIiEEEPS6_S6_16minmax_binary_opIiEEE10hipError_tPvRmT1_T2_T3_mT4_P12ihipStream_tbEUlT_E1_NS1_11comp_targetILNS1_3genE10ELNS1_11target_archE1201ELNS1_3gpuE5ELNS1_3repE0EEENS1_30default_config_static_selectorELNS0_4arch9wavefront6targetE0EEEvSR_: ; @_ZN7rocprim17ROCPRIM_400000_NS6detail17trampoline_kernelINS0_14default_configENS1_22reduce_config_selectorI11minmax_pairIiEEEZNS1_11reduce_implILb1ES3_N6thrust23THRUST_200600_302600_NS11hip_rocprim26transform_input_iterator_tIS6_NSA_6detail15normal_iteratorINSA_10device_ptrIiEEEE15minmax_unary_opIiEEEPS6_S6_16minmax_binary_opIiEEE10hipError_tPvRmT1_T2_T3_mT4_P12ihipStream_tbEUlT_E1_NS1_11comp_targetILNS1_3genE10ELNS1_11target_archE1201ELNS1_3gpuE5ELNS1_3repE0EEENS1_30default_config_static_selectorELNS0_4arch9wavefront6targetE0EEEvSR_
; %bb.0:
	.section	.rodata,"a",@progbits
	.p2align	6, 0x0
	.amdhsa_kernel _ZN7rocprim17ROCPRIM_400000_NS6detail17trampoline_kernelINS0_14default_configENS1_22reduce_config_selectorI11minmax_pairIiEEEZNS1_11reduce_implILb1ES3_N6thrust23THRUST_200600_302600_NS11hip_rocprim26transform_input_iterator_tIS6_NSA_6detail15normal_iteratorINSA_10device_ptrIiEEEE15minmax_unary_opIiEEEPS6_S6_16minmax_binary_opIiEEE10hipError_tPvRmT1_T2_T3_mT4_P12ihipStream_tbEUlT_E1_NS1_11comp_targetILNS1_3genE10ELNS1_11target_archE1201ELNS1_3gpuE5ELNS1_3repE0EEENS1_30default_config_static_selectorELNS0_4arch9wavefront6targetE0EEEvSR_
		.amdhsa_group_segment_fixed_size 0
		.amdhsa_private_segment_fixed_size 0
		.amdhsa_kernarg_size 56
		.amdhsa_user_sgpr_count 2
		.amdhsa_user_sgpr_dispatch_ptr 0
		.amdhsa_user_sgpr_queue_ptr 0
		.amdhsa_user_sgpr_kernarg_segment_ptr 1
		.amdhsa_user_sgpr_dispatch_id 0
		.amdhsa_user_sgpr_kernarg_preload_length 0
		.amdhsa_user_sgpr_kernarg_preload_offset 0
		.amdhsa_user_sgpr_private_segment_size 0
		.amdhsa_wavefront_size32 1
		.amdhsa_uses_dynamic_stack 0
		.amdhsa_enable_private_segment 0
		.amdhsa_system_sgpr_workgroup_id_x 1
		.amdhsa_system_sgpr_workgroup_id_y 0
		.amdhsa_system_sgpr_workgroup_id_z 0
		.amdhsa_system_sgpr_workgroup_info 0
		.amdhsa_system_vgpr_workitem_id 0
		.amdhsa_next_free_vgpr 1
		.amdhsa_next_free_sgpr 1
		.amdhsa_named_barrier_count 0
		.amdhsa_reserve_vcc 0
		.amdhsa_float_round_mode_32 0
		.amdhsa_float_round_mode_16_64 0
		.amdhsa_float_denorm_mode_32 3
		.amdhsa_float_denorm_mode_16_64 3
		.amdhsa_fp16_overflow 0
		.amdhsa_memory_ordered 1
		.amdhsa_forward_progress 1
		.amdhsa_inst_pref_size 0
		.amdhsa_round_robin_scheduling 0
		.amdhsa_exception_fp_ieee_invalid_op 0
		.amdhsa_exception_fp_denorm_src 0
		.amdhsa_exception_fp_ieee_div_zero 0
		.amdhsa_exception_fp_ieee_overflow 0
		.amdhsa_exception_fp_ieee_underflow 0
		.amdhsa_exception_fp_ieee_inexact 0
		.amdhsa_exception_int_div_zero 0
	.end_amdhsa_kernel
	.section	.text._ZN7rocprim17ROCPRIM_400000_NS6detail17trampoline_kernelINS0_14default_configENS1_22reduce_config_selectorI11minmax_pairIiEEEZNS1_11reduce_implILb1ES3_N6thrust23THRUST_200600_302600_NS11hip_rocprim26transform_input_iterator_tIS6_NSA_6detail15normal_iteratorINSA_10device_ptrIiEEEE15minmax_unary_opIiEEEPS6_S6_16minmax_binary_opIiEEE10hipError_tPvRmT1_T2_T3_mT4_P12ihipStream_tbEUlT_E1_NS1_11comp_targetILNS1_3genE10ELNS1_11target_archE1201ELNS1_3gpuE5ELNS1_3repE0EEENS1_30default_config_static_selectorELNS0_4arch9wavefront6targetE0EEEvSR_,"axG",@progbits,_ZN7rocprim17ROCPRIM_400000_NS6detail17trampoline_kernelINS0_14default_configENS1_22reduce_config_selectorI11minmax_pairIiEEEZNS1_11reduce_implILb1ES3_N6thrust23THRUST_200600_302600_NS11hip_rocprim26transform_input_iterator_tIS6_NSA_6detail15normal_iteratorINSA_10device_ptrIiEEEE15minmax_unary_opIiEEEPS6_S6_16minmax_binary_opIiEEE10hipError_tPvRmT1_T2_T3_mT4_P12ihipStream_tbEUlT_E1_NS1_11comp_targetILNS1_3genE10ELNS1_11target_archE1201ELNS1_3gpuE5ELNS1_3repE0EEENS1_30default_config_static_selectorELNS0_4arch9wavefront6targetE0EEEvSR_,comdat
.Lfunc_end33:
	.size	_ZN7rocprim17ROCPRIM_400000_NS6detail17trampoline_kernelINS0_14default_configENS1_22reduce_config_selectorI11minmax_pairIiEEEZNS1_11reduce_implILb1ES3_N6thrust23THRUST_200600_302600_NS11hip_rocprim26transform_input_iterator_tIS6_NSA_6detail15normal_iteratorINSA_10device_ptrIiEEEE15minmax_unary_opIiEEEPS6_S6_16minmax_binary_opIiEEE10hipError_tPvRmT1_T2_T3_mT4_P12ihipStream_tbEUlT_E1_NS1_11comp_targetILNS1_3genE10ELNS1_11target_archE1201ELNS1_3gpuE5ELNS1_3repE0EEENS1_30default_config_static_selectorELNS0_4arch9wavefront6targetE0EEEvSR_, .Lfunc_end33-_ZN7rocprim17ROCPRIM_400000_NS6detail17trampoline_kernelINS0_14default_configENS1_22reduce_config_selectorI11minmax_pairIiEEEZNS1_11reduce_implILb1ES3_N6thrust23THRUST_200600_302600_NS11hip_rocprim26transform_input_iterator_tIS6_NSA_6detail15normal_iteratorINSA_10device_ptrIiEEEE15minmax_unary_opIiEEEPS6_S6_16minmax_binary_opIiEEE10hipError_tPvRmT1_T2_T3_mT4_P12ihipStream_tbEUlT_E1_NS1_11comp_targetILNS1_3genE10ELNS1_11target_archE1201ELNS1_3gpuE5ELNS1_3repE0EEENS1_30default_config_static_selectorELNS0_4arch9wavefront6targetE0EEEvSR_
                                        ; -- End function
	.set _ZN7rocprim17ROCPRIM_400000_NS6detail17trampoline_kernelINS0_14default_configENS1_22reduce_config_selectorI11minmax_pairIiEEEZNS1_11reduce_implILb1ES3_N6thrust23THRUST_200600_302600_NS11hip_rocprim26transform_input_iterator_tIS6_NSA_6detail15normal_iteratorINSA_10device_ptrIiEEEE15minmax_unary_opIiEEEPS6_S6_16minmax_binary_opIiEEE10hipError_tPvRmT1_T2_T3_mT4_P12ihipStream_tbEUlT_E1_NS1_11comp_targetILNS1_3genE10ELNS1_11target_archE1201ELNS1_3gpuE5ELNS1_3repE0EEENS1_30default_config_static_selectorELNS0_4arch9wavefront6targetE0EEEvSR_.num_vgpr, 0
	.set _ZN7rocprim17ROCPRIM_400000_NS6detail17trampoline_kernelINS0_14default_configENS1_22reduce_config_selectorI11minmax_pairIiEEEZNS1_11reduce_implILb1ES3_N6thrust23THRUST_200600_302600_NS11hip_rocprim26transform_input_iterator_tIS6_NSA_6detail15normal_iteratorINSA_10device_ptrIiEEEE15minmax_unary_opIiEEEPS6_S6_16minmax_binary_opIiEEE10hipError_tPvRmT1_T2_T3_mT4_P12ihipStream_tbEUlT_E1_NS1_11comp_targetILNS1_3genE10ELNS1_11target_archE1201ELNS1_3gpuE5ELNS1_3repE0EEENS1_30default_config_static_selectorELNS0_4arch9wavefront6targetE0EEEvSR_.num_agpr, 0
	.set _ZN7rocprim17ROCPRIM_400000_NS6detail17trampoline_kernelINS0_14default_configENS1_22reduce_config_selectorI11minmax_pairIiEEEZNS1_11reduce_implILb1ES3_N6thrust23THRUST_200600_302600_NS11hip_rocprim26transform_input_iterator_tIS6_NSA_6detail15normal_iteratorINSA_10device_ptrIiEEEE15minmax_unary_opIiEEEPS6_S6_16minmax_binary_opIiEEE10hipError_tPvRmT1_T2_T3_mT4_P12ihipStream_tbEUlT_E1_NS1_11comp_targetILNS1_3genE10ELNS1_11target_archE1201ELNS1_3gpuE5ELNS1_3repE0EEENS1_30default_config_static_selectorELNS0_4arch9wavefront6targetE0EEEvSR_.numbered_sgpr, 0
	.set _ZN7rocprim17ROCPRIM_400000_NS6detail17trampoline_kernelINS0_14default_configENS1_22reduce_config_selectorI11minmax_pairIiEEEZNS1_11reduce_implILb1ES3_N6thrust23THRUST_200600_302600_NS11hip_rocprim26transform_input_iterator_tIS6_NSA_6detail15normal_iteratorINSA_10device_ptrIiEEEE15minmax_unary_opIiEEEPS6_S6_16minmax_binary_opIiEEE10hipError_tPvRmT1_T2_T3_mT4_P12ihipStream_tbEUlT_E1_NS1_11comp_targetILNS1_3genE10ELNS1_11target_archE1201ELNS1_3gpuE5ELNS1_3repE0EEENS1_30default_config_static_selectorELNS0_4arch9wavefront6targetE0EEEvSR_.num_named_barrier, 0
	.set _ZN7rocprim17ROCPRIM_400000_NS6detail17trampoline_kernelINS0_14default_configENS1_22reduce_config_selectorI11minmax_pairIiEEEZNS1_11reduce_implILb1ES3_N6thrust23THRUST_200600_302600_NS11hip_rocprim26transform_input_iterator_tIS6_NSA_6detail15normal_iteratorINSA_10device_ptrIiEEEE15minmax_unary_opIiEEEPS6_S6_16minmax_binary_opIiEEE10hipError_tPvRmT1_T2_T3_mT4_P12ihipStream_tbEUlT_E1_NS1_11comp_targetILNS1_3genE10ELNS1_11target_archE1201ELNS1_3gpuE5ELNS1_3repE0EEENS1_30default_config_static_selectorELNS0_4arch9wavefront6targetE0EEEvSR_.private_seg_size, 0
	.set _ZN7rocprim17ROCPRIM_400000_NS6detail17trampoline_kernelINS0_14default_configENS1_22reduce_config_selectorI11minmax_pairIiEEEZNS1_11reduce_implILb1ES3_N6thrust23THRUST_200600_302600_NS11hip_rocprim26transform_input_iterator_tIS6_NSA_6detail15normal_iteratorINSA_10device_ptrIiEEEE15minmax_unary_opIiEEEPS6_S6_16minmax_binary_opIiEEE10hipError_tPvRmT1_T2_T3_mT4_P12ihipStream_tbEUlT_E1_NS1_11comp_targetILNS1_3genE10ELNS1_11target_archE1201ELNS1_3gpuE5ELNS1_3repE0EEENS1_30default_config_static_selectorELNS0_4arch9wavefront6targetE0EEEvSR_.uses_vcc, 0
	.set _ZN7rocprim17ROCPRIM_400000_NS6detail17trampoline_kernelINS0_14default_configENS1_22reduce_config_selectorI11minmax_pairIiEEEZNS1_11reduce_implILb1ES3_N6thrust23THRUST_200600_302600_NS11hip_rocprim26transform_input_iterator_tIS6_NSA_6detail15normal_iteratorINSA_10device_ptrIiEEEE15minmax_unary_opIiEEEPS6_S6_16minmax_binary_opIiEEE10hipError_tPvRmT1_T2_T3_mT4_P12ihipStream_tbEUlT_E1_NS1_11comp_targetILNS1_3genE10ELNS1_11target_archE1201ELNS1_3gpuE5ELNS1_3repE0EEENS1_30default_config_static_selectorELNS0_4arch9wavefront6targetE0EEEvSR_.uses_flat_scratch, 0
	.set _ZN7rocprim17ROCPRIM_400000_NS6detail17trampoline_kernelINS0_14default_configENS1_22reduce_config_selectorI11minmax_pairIiEEEZNS1_11reduce_implILb1ES3_N6thrust23THRUST_200600_302600_NS11hip_rocprim26transform_input_iterator_tIS6_NSA_6detail15normal_iteratorINSA_10device_ptrIiEEEE15minmax_unary_opIiEEEPS6_S6_16minmax_binary_opIiEEE10hipError_tPvRmT1_T2_T3_mT4_P12ihipStream_tbEUlT_E1_NS1_11comp_targetILNS1_3genE10ELNS1_11target_archE1201ELNS1_3gpuE5ELNS1_3repE0EEENS1_30default_config_static_selectorELNS0_4arch9wavefront6targetE0EEEvSR_.has_dyn_sized_stack, 0
	.set _ZN7rocprim17ROCPRIM_400000_NS6detail17trampoline_kernelINS0_14default_configENS1_22reduce_config_selectorI11minmax_pairIiEEEZNS1_11reduce_implILb1ES3_N6thrust23THRUST_200600_302600_NS11hip_rocprim26transform_input_iterator_tIS6_NSA_6detail15normal_iteratorINSA_10device_ptrIiEEEE15minmax_unary_opIiEEEPS6_S6_16minmax_binary_opIiEEE10hipError_tPvRmT1_T2_T3_mT4_P12ihipStream_tbEUlT_E1_NS1_11comp_targetILNS1_3genE10ELNS1_11target_archE1201ELNS1_3gpuE5ELNS1_3repE0EEENS1_30default_config_static_selectorELNS0_4arch9wavefront6targetE0EEEvSR_.has_recursion, 0
	.set _ZN7rocprim17ROCPRIM_400000_NS6detail17trampoline_kernelINS0_14default_configENS1_22reduce_config_selectorI11minmax_pairIiEEEZNS1_11reduce_implILb1ES3_N6thrust23THRUST_200600_302600_NS11hip_rocprim26transform_input_iterator_tIS6_NSA_6detail15normal_iteratorINSA_10device_ptrIiEEEE15minmax_unary_opIiEEEPS6_S6_16minmax_binary_opIiEEE10hipError_tPvRmT1_T2_T3_mT4_P12ihipStream_tbEUlT_E1_NS1_11comp_targetILNS1_3genE10ELNS1_11target_archE1201ELNS1_3gpuE5ELNS1_3repE0EEENS1_30default_config_static_selectorELNS0_4arch9wavefront6targetE0EEEvSR_.has_indirect_call, 0
	.section	.AMDGPU.csdata,"",@progbits
; Kernel info:
; codeLenInByte = 0
; TotalNumSgprs: 0
; NumVgprs: 0
; ScratchSize: 0
; MemoryBound: 0
; FloatMode: 240
; IeeeMode: 1
; LDSByteSize: 0 bytes/workgroup (compile time only)
; SGPRBlocks: 0
; VGPRBlocks: 0
; NumSGPRsForWavesPerEU: 1
; NumVGPRsForWavesPerEU: 1
; NamedBarCnt: 0
; Occupancy: 16
; WaveLimiterHint : 0
; COMPUTE_PGM_RSRC2:SCRATCH_EN: 0
; COMPUTE_PGM_RSRC2:USER_SGPR: 2
; COMPUTE_PGM_RSRC2:TRAP_HANDLER: 0
; COMPUTE_PGM_RSRC2:TGID_X_EN: 1
; COMPUTE_PGM_RSRC2:TGID_Y_EN: 0
; COMPUTE_PGM_RSRC2:TGID_Z_EN: 0
; COMPUTE_PGM_RSRC2:TIDIG_COMP_CNT: 0
	.section	.text._ZN7rocprim17ROCPRIM_400000_NS6detail17trampoline_kernelINS0_14default_configENS1_22reduce_config_selectorI11minmax_pairIiEEEZNS1_11reduce_implILb1ES3_N6thrust23THRUST_200600_302600_NS11hip_rocprim26transform_input_iterator_tIS6_NSA_6detail15normal_iteratorINSA_10device_ptrIiEEEE15minmax_unary_opIiEEEPS6_S6_16minmax_binary_opIiEEE10hipError_tPvRmT1_T2_T3_mT4_P12ihipStream_tbEUlT_E1_NS1_11comp_targetILNS1_3genE10ELNS1_11target_archE1200ELNS1_3gpuE4ELNS1_3repE0EEENS1_30default_config_static_selectorELNS0_4arch9wavefront6targetE0EEEvSR_,"axG",@progbits,_ZN7rocprim17ROCPRIM_400000_NS6detail17trampoline_kernelINS0_14default_configENS1_22reduce_config_selectorI11minmax_pairIiEEEZNS1_11reduce_implILb1ES3_N6thrust23THRUST_200600_302600_NS11hip_rocprim26transform_input_iterator_tIS6_NSA_6detail15normal_iteratorINSA_10device_ptrIiEEEE15minmax_unary_opIiEEEPS6_S6_16minmax_binary_opIiEEE10hipError_tPvRmT1_T2_T3_mT4_P12ihipStream_tbEUlT_E1_NS1_11comp_targetILNS1_3genE10ELNS1_11target_archE1200ELNS1_3gpuE4ELNS1_3repE0EEENS1_30default_config_static_selectorELNS0_4arch9wavefront6targetE0EEEvSR_,comdat
	.protected	_ZN7rocprim17ROCPRIM_400000_NS6detail17trampoline_kernelINS0_14default_configENS1_22reduce_config_selectorI11minmax_pairIiEEEZNS1_11reduce_implILb1ES3_N6thrust23THRUST_200600_302600_NS11hip_rocprim26transform_input_iterator_tIS6_NSA_6detail15normal_iteratorINSA_10device_ptrIiEEEE15minmax_unary_opIiEEEPS6_S6_16minmax_binary_opIiEEE10hipError_tPvRmT1_T2_T3_mT4_P12ihipStream_tbEUlT_E1_NS1_11comp_targetILNS1_3genE10ELNS1_11target_archE1200ELNS1_3gpuE4ELNS1_3repE0EEENS1_30default_config_static_selectorELNS0_4arch9wavefront6targetE0EEEvSR_ ; -- Begin function _ZN7rocprim17ROCPRIM_400000_NS6detail17trampoline_kernelINS0_14default_configENS1_22reduce_config_selectorI11minmax_pairIiEEEZNS1_11reduce_implILb1ES3_N6thrust23THRUST_200600_302600_NS11hip_rocprim26transform_input_iterator_tIS6_NSA_6detail15normal_iteratorINSA_10device_ptrIiEEEE15minmax_unary_opIiEEEPS6_S6_16minmax_binary_opIiEEE10hipError_tPvRmT1_T2_T3_mT4_P12ihipStream_tbEUlT_E1_NS1_11comp_targetILNS1_3genE10ELNS1_11target_archE1200ELNS1_3gpuE4ELNS1_3repE0EEENS1_30default_config_static_selectorELNS0_4arch9wavefront6targetE0EEEvSR_
	.globl	_ZN7rocprim17ROCPRIM_400000_NS6detail17trampoline_kernelINS0_14default_configENS1_22reduce_config_selectorI11minmax_pairIiEEEZNS1_11reduce_implILb1ES3_N6thrust23THRUST_200600_302600_NS11hip_rocprim26transform_input_iterator_tIS6_NSA_6detail15normal_iteratorINSA_10device_ptrIiEEEE15minmax_unary_opIiEEEPS6_S6_16minmax_binary_opIiEEE10hipError_tPvRmT1_T2_T3_mT4_P12ihipStream_tbEUlT_E1_NS1_11comp_targetILNS1_3genE10ELNS1_11target_archE1200ELNS1_3gpuE4ELNS1_3repE0EEENS1_30default_config_static_selectorELNS0_4arch9wavefront6targetE0EEEvSR_
	.p2align	8
	.type	_ZN7rocprim17ROCPRIM_400000_NS6detail17trampoline_kernelINS0_14default_configENS1_22reduce_config_selectorI11minmax_pairIiEEEZNS1_11reduce_implILb1ES3_N6thrust23THRUST_200600_302600_NS11hip_rocprim26transform_input_iterator_tIS6_NSA_6detail15normal_iteratorINSA_10device_ptrIiEEEE15minmax_unary_opIiEEEPS6_S6_16minmax_binary_opIiEEE10hipError_tPvRmT1_T2_T3_mT4_P12ihipStream_tbEUlT_E1_NS1_11comp_targetILNS1_3genE10ELNS1_11target_archE1200ELNS1_3gpuE4ELNS1_3repE0EEENS1_30default_config_static_selectorELNS0_4arch9wavefront6targetE0EEEvSR_,@function
_ZN7rocprim17ROCPRIM_400000_NS6detail17trampoline_kernelINS0_14default_configENS1_22reduce_config_selectorI11minmax_pairIiEEEZNS1_11reduce_implILb1ES3_N6thrust23THRUST_200600_302600_NS11hip_rocprim26transform_input_iterator_tIS6_NSA_6detail15normal_iteratorINSA_10device_ptrIiEEEE15minmax_unary_opIiEEEPS6_S6_16minmax_binary_opIiEEE10hipError_tPvRmT1_T2_T3_mT4_P12ihipStream_tbEUlT_E1_NS1_11comp_targetILNS1_3genE10ELNS1_11target_archE1200ELNS1_3gpuE4ELNS1_3repE0EEENS1_30default_config_static_selectorELNS0_4arch9wavefront6targetE0EEEvSR_: ; @_ZN7rocprim17ROCPRIM_400000_NS6detail17trampoline_kernelINS0_14default_configENS1_22reduce_config_selectorI11minmax_pairIiEEEZNS1_11reduce_implILb1ES3_N6thrust23THRUST_200600_302600_NS11hip_rocprim26transform_input_iterator_tIS6_NSA_6detail15normal_iteratorINSA_10device_ptrIiEEEE15minmax_unary_opIiEEEPS6_S6_16minmax_binary_opIiEEE10hipError_tPvRmT1_T2_T3_mT4_P12ihipStream_tbEUlT_E1_NS1_11comp_targetILNS1_3genE10ELNS1_11target_archE1200ELNS1_3gpuE4ELNS1_3repE0EEENS1_30default_config_static_selectorELNS0_4arch9wavefront6targetE0EEEvSR_
; %bb.0:
	.section	.rodata,"a",@progbits
	.p2align	6, 0x0
	.amdhsa_kernel _ZN7rocprim17ROCPRIM_400000_NS6detail17trampoline_kernelINS0_14default_configENS1_22reduce_config_selectorI11minmax_pairIiEEEZNS1_11reduce_implILb1ES3_N6thrust23THRUST_200600_302600_NS11hip_rocprim26transform_input_iterator_tIS6_NSA_6detail15normal_iteratorINSA_10device_ptrIiEEEE15minmax_unary_opIiEEEPS6_S6_16minmax_binary_opIiEEE10hipError_tPvRmT1_T2_T3_mT4_P12ihipStream_tbEUlT_E1_NS1_11comp_targetILNS1_3genE10ELNS1_11target_archE1200ELNS1_3gpuE4ELNS1_3repE0EEENS1_30default_config_static_selectorELNS0_4arch9wavefront6targetE0EEEvSR_
		.amdhsa_group_segment_fixed_size 0
		.amdhsa_private_segment_fixed_size 0
		.amdhsa_kernarg_size 56
		.amdhsa_user_sgpr_count 2
		.amdhsa_user_sgpr_dispatch_ptr 0
		.amdhsa_user_sgpr_queue_ptr 0
		.amdhsa_user_sgpr_kernarg_segment_ptr 1
		.amdhsa_user_sgpr_dispatch_id 0
		.amdhsa_user_sgpr_kernarg_preload_length 0
		.amdhsa_user_sgpr_kernarg_preload_offset 0
		.amdhsa_user_sgpr_private_segment_size 0
		.amdhsa_wavefront_size32 1
		.amdhsa_uses_dynamic_stack 0
		.amdhsa_enable_private_segment 0
		.amdhsa_system_sgpr_workgroup_id_x 1
		.amdhsa_system_sgpr_workgroup_id_y 0
		.amdhsa_system_sgpr_workgroup_id_z 0
		.amdhsa_system_sgpr_workgroup_info 0
		.amdhsa_system_vgpr_workitem_id 0
		.amdhsa_next_free_vgpr 1
		.amdhsa_next_free_sgpr 1
		.amdhsa_named_barrier_count 0
		.amdhsa_reserve_vcc 0
		.amdhsa_float_round_mode_32 0
		.amdhsa_float_round_mode_16_64 0
		.amdhsa_float_denorm_mode_32 3
		.amdhsa_float_denorm_mode_16_64 3
		.amdhsa_fp16_overflow 0
		.amdhsa_memory_ordered 1
		.amdhsa_forward_progress 1
		.amdhsa_inst_pref_size 0
		.amdhsa_round_robin_scheduling 0
		.amdhsa_exception_fp_ieee_invalid_op 0
		.amdhsa_exception_fp_denorm_src 0
		.amdhsa_exception_fp_ieee_div_zero 0
		.amdhsa_exception_fp_ieee_overflow 0
		.amdhsa_exception_fp_ieee_underflow 0
		.amdhsa_exception_fp_ieee_inexact 0
		.amdhsa_exception_int_div_zero 0
	.end_amdhsa_kernel
	.section	.text._ZN7rocprim17ROCPRIM_400000_NS6detail17trampoline_kernelINS0_14default_configENS1_22reduce_config_selectorI11minmax_pairIiEEEZNS1_11reduce_implILb1ES3_N6thrust23THRUST_200600_302600_NS11hip_rocprim26transform_input_iterator_tIS6_NSA_6detail15normal_iteratorINSA_10device_ptrIiEEEE15minmax_unary_opIiEEEPS6_S6_16minmax_binary_opIiEEE10hipError_tPvRmT1_T2_T3_mT4_P12ihipStream_tbEUlT_E1_NS1_11comp_targetILNS1_3genE10ELNS1_11target_archE1200ELNS1_3gpuE4ELNS1_3repE0EEENS1_30default_config_static_selectorELNS0_4arch9wavefront6targetE0EEEvSR_,"axG",@progbits,_ZN7rocprim17ROCPRIM_400000_NS6detail17trampoline_kernelINS0_14default_configENS1_22reduce_config_selectorI11minmax_pairIiEEEZNS1_11reduce_implILb1ES3_N6thrust23THRUST_200600_302600_NS11hip_rocprim26transform_input_iterator_tIS6_NSA_6detail15normal_iteratorINSA_10device_ptrIiEEEE15minmax_unary_opIiEEEPS6_S6_16minmax_binary_opIiEEE10hipError_tPvRmT1_T2_T3_mT4_P12ihipStream_tbEUlT_E1_NS1_11comp_targetILNS1_3genE10ELNS1_11target_archE1200ELNS1_3gpuE4ELNS1_3repE0EEENS1_30default_config_static_selectorELNS0_4arch9wavefront6targetE0EEEvSR_,comdat
.Lfunc_end34:
	.size	_ZN7rocprim17ROCPRIM_400000_NS6detail17trampoline_kernelINS0_14default_configENS1_22reduce_config_selectorI11minmax_pairIiEEEZNS1_11reduce_implILb1ES3_N6thrust23THRUST_200600_302600_NS11hip_rocprim26transform_input_iterator_tIS6_NSA_6detail15normal_iteratorINSA_10device_ptrIiEEEE15minmax_unary_opIiEEEPS6_S6_16minmax_binary_opIiEEE10hipError_tPvRmT1_T2_T3_mT4_P12ihipStream_tbEUlT_E1_NS1_11comp_targetILNS1_3genE10ELNS1_11target_archE1200ELNS1_3gpuE4ELNS1_3repE0EEENS1_30default_config_static_selectorELNS0_4arch9wavefront6targetE0EEEvSR_, .Lfunc_end34-_ZN7rocprim17ROCPRIM_400000_NS6detail17trampoline_kernelINS0_14default_configENS1_22reduce_config_selectorI11minmax_pairIiEEEZNS1_11reduce_implILb1ES3_N6thrust23THRUST_200600_302600_NS11hip_rocprim26transform_input_iterator_tIS6_NSA_6detail15normal_iteratorINSA_10device_ptrIiEEEE15minmax_unary_opIiEEEPS6_S6_16minmax_binary_opIiEEE10hipError_tPvRmT1_T2_T3_mT4_P12ihipStream_tbEUlT_E1_NS1_11comp_targetILNS1_3genE10ELNS1_11target_archE1200ELNS1_3gpuE4ELNS1_3repE0EEENS1_30default_config_static_selectorELNS0_4arch9wavefront6targetE0EEEvSR_
                                        ; -- End function
	.set _ZN7rocprim17ROCPRIM_400000_NS6detail17trampoline_kernelINS0_14default_configENS1_22reduce_config_selectorI11minmax_pairIiEEEZNS1_11reduce_implILb1ES3_N6thrust23THRUST_200600_302600_NS11hip_rocprim26transform_input_iterator_tIS6_NSA_6detail15normal_iteratorINSA_10device_ptrIiEEEE15minmax_unary_opIiEEEPS6_S6_16minmax_binary_opIiEEE10hipError_tPvRmT1_T2_T3_mT4_P12ihipStream_tbEUlT_E1_NS1_11comp_targetILNS1_3genE10ELNS1_11target_archE1200ELNS1_3gpuE4ELNS1_3repE0EEENS1_30default_config_static_selectorELNS0_4arch9wavefront6targetE0EEEvSR_.num_vgpr, 0
	.set _ZN7rocprim17ROCPRIM_400000_NS6detail17trampoline_kernelINS0_14default_configENS1_22reduce_config_selectorI11minmax_pairIiEEEZNS1_11reduce_implILb1ES3_N6thrust23THRUST_200600_302600_NS11hip_rocprim26transform_input_iterator_tIS6_NSA_6detail15normal_iteratorINSA_10device_ptrIiEEEE15minmax_unary_opIiEEEPS6_S6_16minmax_binary_opIiEEE10hipError_tPvRmT1_T2_T3_mT4_P12ihipStream_tbEUlT_E1_NS1_11comp_targetILNS1_3genE10ELNS1_11target_archE1200ELNS1_3gpuE4ELNS1_3repE0EEENS1_30default_config_static_selectorELNS0_4arch9wavefront6targetE0EEEvSR_.num_agpr, 0
	.set _ZN7rocprim17ROCPRIM_400000_NS6detail17trampoline_kernelINS0_14default_configENS1_22reduce_config_selectorI11minmax_pairIiEEEZNS1_11reduce_implILb1ES3_N6thrust23THRUST_200600_302600_NS11hip_rocprim26transform_input_iterator_tIS6_NSA_6detail15normal_iteratorINSA_10device_ptrIiEEEE15minmax_unary_opIiEEEPS6_S6_16minmax_binary_opIiEEE10hipError_tPvRmT1_T2_T3_mT4_P12ihipStream_tbEUlT_E1_NS1_11comp_targetILNS1_3genE10ELNS1_11target_archE1200ELNS1_3gpuE4ELNS1_3repE0EEENS1_30default_config_static_selectorELNS0_4arch9wavefront6targetE0EEEvSR_.numbered_sgpr, 0
	.set _ZN7rocprim17ROCPRIM_400000_NS6detail17trampoline_kernelINS0_14default_configENS1_22reduce_config_selectorI11minmax_pairIiEEEZNS1_11reduce_implILb1ES3_N6thrust23THRUST_200600_302600_NS11hip_rocprim26transform_input_iterator_tIS6_NSA_6detail15normal_iteratorINSA_10device_ptrIiEEEE15minmax_unary_opIiEEEPS6_S6_16minmax_binary_opIiEEE10hipError_tPvRmT1_T2_T3_mT4_P12ihipStream_tbEUlT_E1_NS1_11comp_targetILNS1_3genE10ELNS1_11target_archE1200ELNS1_3gpuE4ELNS1_3repE0EEENS1_30default_config_static_selectorELNS0_4arch9wavefront6targetE0EEEvSR_.num_named_barrier, 0
	.set _ZN7rocprim17ROCPRIM_400000_NS6detail17trampoline_kernelINS0_14default_configENS1_22reduce_config_selectorI11minmax_pairIiEEEZNS1_11reduce_implILb1ES3_N6thrust23THRUST_200600_302600_NS11hip_rocprim26transform_input_iterator_tIS6_NSA_6detail15normal_iteratorINSA_10device_ptrIiEEEE15minmax_unary_opIiEEEPS6_S6_16minmax_binary_opIiEEE10hipError_tPvRmT1_T2_T3_mT4_P12ihipStream_tbEUlT_E1_NS1_11comp_targetILNS1_3genE10ELNS1_11target_archE1200ELNS1_3gpuE4ELNS1_3repE0EEENS1_30default_config_static_selectorELNS0_4arch9wavefront6targetE0EEEvSR_.private_seg_size, 0
	.set _ZN7rocprim17ROCPRIM_400000_NS6detail17trampoline_kernelINS0_14default_configENS1_22reduce_config_selectorI11minmax_pairIiEEEZNS1_11reduce_implILb1ES3_N6thrust23THRUST_200600_302600_NS11hip_rocprim26transform_input_iterator_tIS6_NSA_6detail15normal_iteratorINSA_10device_ptrIiEEEE15minmax_unary_opIiEEEPS6_S6_16minmax_binary_opIiEEE10hipError_tPvRmT1_T2_T3_mT4_P12ihipStream_tbEUlT_E1_NS1_11comp_targetILNS1_3genE10ELNS1_11target_archE1200ELNS1_3gpuE4ELNS1_3repE0EEENS1_30default_config_static_selectorELNS0_4arch9wavefront6targetE0EEEvSR_.uses_vcc, 0
	.set _ZN7rocprim17ROCPRIM_400000_NS6detail17trampoline_kernelINS0_14default_configENS1_22reduce_config_selectorI11minmax_pairIiEEEZNS1_11reduce_implILb1ES3_N6thrust23THRUST_200600_302600_NS11hip_rocprim26transform_input_iterator_tIS6_NSA_6detail15normal_iteratorINSA_10device_ptrIiEEEE15minmax_unary_opIiEEEPS6_S6_16minmax_binary_opIiEEE10hipError_tPvRmT1_T2_T3_mT4_P12ihipStream_tbEUlT_E1_NS1_11comp_targetILNS1_3genE10ELNS1_11target_archE1200ELNS1_3gpuE4ELNS1_3repE0EEENS1_30default_config_static_selectorELNS0_4arch9wavefront6targetE0EEEvSR_.uses_flat_scratch, 0
	.set _ZN7rocprim17ROCPRIM_400000_NS6detail17trampoline_kernelINS0_14default_configENS1_22reduce_config_selectorI11minmax_pairIiEEEZNS1_11reduce_implILb1ES3_N6thrust23THRUST_200600_302600_NS11hip_rocprim26transform_input_iterator_tIS6_NSA_6detail15normal_iteratorINSA_10device_ptrIiEEEE15minmax_unary_opIiEEEPS6_S6_16minmax_binary_opIiEEE10hipError_tPvRmT1_T2_T3_mT4_P12ihipStream_tbEUlT_E1_NS1_11comp_targetILNS1_3genE10ELNS1_11target_archE1200ELNS1_3gpuE4ELNS1_3repE0EEENS1_30default_config_static_selectorELNS0_4arch9wavefront6targetE0EEEvSR_.has_dyn_sized_stack, 0
	.set _ZN7rocprim17ROCPRIM_400000_NS6detail17trampoline_kernelINS0_14default_configENS1_22reduce_config_selectorI11minmax_pairIiEEEZNS1_11reduce_implILb1ES3_N6thrust23THRUST_200600_302600_NS11hip_rocprim26transform_input_iterator_tIS6_NSA_6detail15normal_iteratorINSA_10device_ptrIiEEEE15minmax_unary_opIiEEEPS6_S6_16minmax_binary_opIiEEE10hipError_tPvRmT1_T2_T3_mT4_P12ihipStream_tbEUlT_E1_NS1_11comp_targetILNS1_3genE10ELNS1_11target_archE1200ELNS1_3gpuE4ELNS1_3repE0EEENS1_30default_config_static_selectorELNS0_4arch9wavefront6targetE0EEEvSR_.has_recursion, 0
	.set _ZN7rocprim17ROCPRIM_400000_NS6detail17trampoline_kernelINS0_14default_configENS1_22reduce_config_selectorI11minmax_pairIiEEEZNS1_11reduce_implILb1ES3_N6thrust23THRUST_200600_302600_NS11hip_rocprim26transform_input_iterator_tIS6_NSA_6detail15normal_iteratorINSA_10device_ptrIiEEEE15minmax_unary_opIiEEEPS6_S6_16minmax_binary_opIiEEE10hipError_tPvRmT1_T2_T3_mT4_P12ihipStream_tbEUlT_E1_NS1_11comp_targetILNS1_3genE10ELNS1_11target_archE1200ELNS1_3gpuE4ELNS1_3repE0EEENS1_30default_config_static_selectorELNS0_4arch9wavefront6targetE0EEEvSR_.has_indirect_call, 0
	.section	.AMDGPU.csdata,"",@progbits
; Kernel info:
; codeLenInByte = 0
; TotalNumSgprs: 0
; NumVgprs: 0
; ScratchSize: 0
; MemoryBound: 0
; FloatMode: 240
; IeeeMode: 1
; LDSByteSize: 0 bytes/workgroup (compile time only)
; SGPRBlocks: 0
; VGPRBlocks: 0
; NumSGPRsForWavesPerEU: 1
; NumVGPRsForWavesPerEU: 1
; NamedBarCnt: 0
; Occupancy: 16
; WaveLimiterHint : 0
; COMPUTE_PGM_RSRC2:SCRATCH_EN: 0
; COMPUTE_PGM_RSRC2:USER_SGPR: 2
; COMPUTE_PGM_RSRC2:TRAP_HANDLER: 0
; COMPUTE_PGM_RSRC2:TGID_X_EN: 1
; COMPUTE_PGM_RSRC2:TGID_Y_EN: 0
; COMPUTE_PGM_RSRC2:TGID_Z_EN: 0
; COMPUTE_PGM_RSRC2:TIDIG_COMP_CNT: 0
	.section	.text._ZN7rocprim17ROCPRIM_400000_NS6detail17trampoline_kernelINS0_14default_configENS1_22reduce_config_selectorI11minmax_pairIiEEEZNS1_11reduce_implILb1ES3_N6thrust23THRUST_200600_302600_NS11hip_rocprim26transform_input_iterator_tIS6_NSA_6detail15normal_iteratorINSA_10device_ptrIiEEEE15minmax_unary_opIiEEEPS6_S6_16minmax_binary_opIiEEE10hipError_tPvRmT1_T2_T3_mT4_P12ihipStream_tbEUlT_E1_NS1_11comp_targetILNS1_3genE9ELNS1_11target_archE1100ELNS1_3gpuE3ELNS1_3repE0EEENS1_30default_config_static_selectorELNS0_4arch9wavefront6targetE0EEEvSR_,"axG",@progbits,_ZN7rocprim17ROCPRIM_400000_NS6detail17trampoline_kernelINS0_14default_configENS1_22reduce_config_selectorI11minmax_pairIiEEEZNS1_11reduce_implILb1ES3_N6thrust23THRUST_200600_302600_NS11hip_rocprim26transform_input_iterator_tIS6_NSA_6detail15normal_iteratorINSA_10device_ptrIiEEEE15minmax_unary_opIiEEEPS6_S6_16minmax_binary_opIiEEE10hipError_tPvRmT1_T2_T3_mT4_P12ihipStream_tbEUlT_E1_NS1_11comp_targetILNS1_3genE9ELNS1_11target_archE1100ELNS1_3gpuE3ELNS1_3repE0EEENS1_30default_config_static_selectorELNS0_4arch9wavefront6targetE0EEEvSR_,comdat
	.protected	_ZN7rocprim17ROCPRIM_400000_NS6detail17trampoline_kernelINS0_14default_configENS1_22reduce_config_selectorI11minmax_pairIiEEEZNS1_11reduce_implILb1ES3_N6thrust23THRUST_200600_302600_NS11hip_rocprim26transform_input_iterator_tIS6_NSA_6detail15normal_iteratorINSA_10device_ptrIiEEEE15minmax_unary_opIiEEEPS6_S6_16minmax_binary_opIiEEE10hipError_tPvRmT1_T2_T3_mT4_P12ihipStream_tbEUlT_E1_NS1_11comp_targetILNS1_3genE9ELNS1_11target_archE1100ELNS1_3gpuE3ELNS1_3repE0EEENS1_30default_config_static_selectorELNS0_4arch9wavefront6targetE0EEEvSR_ ; -- Begin function _ZN7rocprim17ROCPRIM_400000_NS6detail17trampoline_kernelINS0_14default_configENS1_22reduce_config_selectorI11minmax_pairIiEEEZNS1_11reduce_implILb1ES3_N6thrust23THRUST_200600_302600_NS11hip_rocprim26transform_input_iterator_tIS6_NSA_6detail15normal_iteratorINSA_10device_ptrIiEEEE15minmax_unary_opIiEEEPS6_S6_16minmax_binary_opIiEEE10hipError_tPvRmT1_T2_T3_mT4_P12ihipStream_tbEUlT_E1_NS1_11comp_targetILNS1_3genE9ELNS1_11target_archE1100ELNS1_3gpuE3ELNS1_3repE0EEENS1_30default_config_static_selectorELNS0_4arch9wavefront6targetE0EEEvSR_
	.globl	_ZN7rocprim17ROCPRIM_400000_NS6detail17trampoline_kernelINS0_14default_configENS1_22reduce_config_selectorI11minmax_pairIiEEEZNS1_11reduce_implILb1ES3_N6thrust23THRUST_200600_302600_NS11hip_rocprim26transform_input_iterator_tIS6_NSA_6detail15normal_iteratorINSA_10device_ptrIiEEEE15minmax_unary_opIiEEEPS6_S6_16minmax_binary_opIiEEE10hipError_tPvRmT1_T2_T3_mT4_P12ihipStream_tbEUlT_E1_NS1_11comp_targetILNS1_3genE9ELNS1_11target_archE1100ELNS1_3gpuE3ELNS1_3repE0EEENS1_30default_config_static_selectorELNS0_4arch9wavefront6targetE0EEEvSR_
	.p2align	8
	.type	_ZN7rocprim17ROCPRIM_400000_NS6detail17trampoline_kernelINS0_14default_configENS1_22reduce_config_selectorI11minmax_pairIiEEEZNS1_11reduce_implILb1ES3_N6thrust23THRUST_200600_302600_NS11hip_rocprim26transform_input_iterator_tIS6_NSA_6detail15normal_iteratorINSA_10device_ptrIiEEEE15minmax_unary_opIiEEEPS6_S6_16minmax_binary_opIiEEE10hipError_tPvRmT1_T2_T3_mT4_P12ihipStream_tbEUlT_E1_NS1_11comp_targetILNS1_3genE9ELNS1_11target_archE1100ELNS1_3gpuE3ELNS1_3repE0EEENS1_30default_config_static_selectorELNS0_4arch9wavefront6targetE0EEEvSR_,@function
_ZN7rocprim17ROCPRIM_400000_NS6detail17trampoline_kernelINS0_14default_configENS1_22reduce_config_selectorI11minmax_pairIiEEEZNS1_11reduce_implILb1ES3_N6thrust23THRUST_200600_302600_NS11hip_rocprim26transform_input_iterator_tIS6_NSA_6detail15normal_iteratorINSA_10device_ptrIiEEEE15minmax_unary_opIiEEEPS6_S6_16minmax_binary_opIiEEE10hipError_tPvRmT1_T2_T3_mT4_P12ihipStream_tbEUlT_E1_NS1_11comp_targetILNS1_3genE9ELNS1_11target_archE1100ELNS1_3gpuE3ELNS1_3repE0EEENS1_30default_config_static_selectorELNS0_4arch9wavefront6targetE0EEEvSR_: ; @_ZN7rocprim17ROCPRIM_400000_NS6detail17trampoline_kernelINS0_14default_configENS1_22reduce_config_selectorI11minmax_pairIiEEEZNS1_11reduce_implILb1ES3_N6thrust23THRUST_200600_302600_NS11hip_rocprim26transform_input_iterator_tIS6_NSA_6detail15normal_iteratorINSA_10device_ptrIiEEEE15minmax_unary_opIiEEEPS6_S6_16minmax_binary_opIiEEE10hipError_tPvRmT1_T2_T3_mT4_P12ihipStream_tbEUlT_E1_NS1_11comp_targetILNS1_3genE9ELNS1_11target_archE1100ELNS1_3gpuE3ELNS1_3repE0EEENS1_30default_config_static_selectorELNS0_4arch9wavefront6targetE0EEEvSR_
; %bb.0:
	.section	.rodata,"a",@progbits
	.p2align	6, 0x0
	.amdhsa_kernel _ZN7rocprim17ROCPRIM_400000_NS6detail17trampoline_kernelINS0_14default_configENS1_22reduce_config_selectorI11minmax_pairIiEEEZNS1_11reduce_implILb1ES3_N6thrust23THRUST_200600_302600_NS11hip_rocprim26transform_input_iterator_tIS6_NSA_6detail15normal_iteratorINSA_10device_ptrIiEEEE15minmax_unary_opIiEEEPS6_S6_16minmax_binary_opIiEEE10hipError_tPvRmT1_T2_T3_mT4_P12ihipStream_tbEUlT_E1_NS1_11comp_targetILNS1_3genE9ELNS1_11target_archE1100ELNS1_3gpuE3ELNS1_3repE0EEENS1_30default_config_static_selectorELNS0_4arch9wavefront6targetE0EEEvSR_
		.amdhsa_group_segment_fixed_size 0
		.amdhsa_private_segment_fixed_size 0
		.amdhsa_kernarg_size 56
		.amdhsa_user_sgpr_count 2
		.amdhsa_user_sgpr_dispatch_ptr 0
		.amdhsa_user_sgpr_queue_ptr 0
		.amdhsa_user_sgpr_kernarg_segment_ptr 1
		.amdhsa_user_sgpr_dispatch_id 0
		.amdhsa_user_sgpr_kernarg_preload_length 0
		.amdhsa_user_sgpr_kernarg_preload_offset 0
		.amdhsa_user_sgpr_private_segment_size 0
		.amdhsa_wavefront_size32 1
		.amdhsa_uses_dynamic_stack 0
		.amdhsa_enable_private_segment 0
		.amdhsa_system_sgpr_workgroup_id_x 1
		.amdhsa_system_sgpr_workgroup_id_y 0
		.amdhsa_system_sgpr_workgroup_id_z 0
		.amdhsa_system_sgpr_workgroup_info 0
		.amdhsa_system_vgpr_workitem_id 0
		.amdhsa_next_free_vgpr 1
		.amdhsa_next_free_sgpr 1
		.amdhsa_named_barrier_count 0
		.amdhsa_reserve_vcc 0
		.amdhsa_float_round_mode_32 0
		.amdhsa_float_round_mode_16_64 0
		.amdhsa_float_denorm_mode_32 3
		.amdhsa_float_denorm_mode_16_64 3
		.amdhsa_fp16_overflow 0
		.amdhsa_memory_ordered 1
		.amdhsa_forward_progress 1
		.amdhsa_inst_pref_size 0
		.amdhsa_round_robin_scheduling 0
		.amdhsa_exception_fp_ieee_invalid_op 0
		.amdhsa_exception_fp_denorm_src 0
		.amdhsa_exception_fp_ieee_div_zero 0
		.amdhsa_exception_fp_ieee_overflow 0
		.amdhsa_exception_fp_ieee_underflow 0
		.amdhsa_exception_fp_ieee_inexact 0
		.amdhsa_exception_int_div_zero 0
	.end_amdhsa_kernel
	.section	.text._ZN7rocprim17ROCPRIM_400000_NS6detail17trampoline_kernelINS0_14default_configENS1_22reduce_config_selectorI11minmax_pairIiEEEZNS1_11reduce_implILb1ES3_N6thrust23THRUST_200600_302600_NS11hip_rocprim26transform_input_iterator_tIS6_NSA_6detail15normal_iteratorINSA_10device_ptrIiEEEE15minmax_unary_opIiEEEPS6_S6_16minmax_binary_opIiEEE10hipError_tPvRmT1_T2_T3_mT4_P12ihipStream_tbEUlT_E1_NS1_11comp_targetILNS1_3genE9ELNS1_11target_archE1100ELNS1_3gpuE3ELNS1_3repE0EEENS1_30default_config_static_selectorELNS0_4arch9wavefront6targetE0EEEvSR_,"axG",@progbits,_ZN7rocprim17ROCPRIM_400000_NS6detail17trampoline_kernelINS0_14default_configENS1_22reduce_config_selectorI11minmax_pairIiEEEZNS1_11reduce_implILb1ES3_N6thrust23THRUST_200600_302600_NS11hip_rocprim26transform_input_iterator_tIS6_NSA_6detail15normal_iteratorINSA_10device_ptrIiEEEE15minmax_unary_opIiEEEPS6_S6_16minmax_binary_opIiEEE10hipError_tPvRmT1_T2_T3_mT4_P12ihipStream_tbEUlT_E1_NS1_11comp_targetILNS1_3genE9ELNS1_11target_archE1100ELNS1_3gpuE3ELNS1_3repE0EEENS1_30default_config_static_selectorELNS0_4arch9wavefront6targetE0EEEvSR_,comdat
.Lfunc_end35:
	.size	_ZN7rocprim17ROCPRIM_400000_NS6detail17trampoline_kernelINS0_14default_configENS1_22reduce_config_selectorI11minmax_pairIiEEEZNS1_11reduce_implILb1ES3_N6thrust23THRUST_200600_302600_NS11hip_rocprim26transform_input_iterator_tIS6_NSA_6detail15normal_iteratorINSA_10device_ptrIiEEEE15minmax_unary_opIiEEEPS6_S6_16minmax_binary_opIiEEE10hipError_tPvRmT1_T2_T3_mT4_P12ihipStream_tbEUlT_E1_NS1_11comp_targetILNS1_3genE9ELNS1_11target_archE1100ELNS1_3gpuE3ELNS1_3repE0EEENS1_30default_config_static_selectorELNS0_4arch9wavefront6targetE0EEEvSR_, .Lfunc_end35-_ZN7rocprim17ROCPRIM_400000_NS6detail17trampoline_kernelINS0_14default_configENS1_22reduce_config_selectorI11minmax_pairIiEEEZNS1_11reduce_implILb1ES3_N6thrust23THRUST_200600_302600_NS11hip_rocprim26transform_input_iterator_tIS6_NSA_6detail15normal_iteratorINSA_10device_ptrIiEEEE15minmax_unary_opIiEEEPS6_S6_16minmax_binary_opIiEEE10hipError_tPvRmT1_T2_T3_mT4_P12ihipStream_tbEUlT_E1_NS1_11comp_targetILNS1_3genE9ELNS1_11target_archE1100ELNS1_3gpuE3ELNS1_3repE0EEENS1_30default_config_static_selectorELNS0_4arch9wavefront6targetE0EEEvSR_
                                        ; -- End function
	.set _ZN7rocprim17ROCPRIM_400000_NS6detail17trampoline_kernelINS0_14default_configENS1_22reduce_config_selectorI11minmax_pairIiEEEZNS1_11reduce_implILb1ES3_N6thrust23THRUST_200600_302600_NS11hip_rocprim26transform_input_iterator_tIS6_NSA_6detail15normal_iteratorINSA_10device_ptrIiEEEE15minmax_unary_opIiEEEPS6_S6_16minmax_binary_opIiEEE10hipError_tPvRmT1_T2_T3_mT4_P12ihipStream_tbEUlT_E1_NS1_11comp_targetILNS1_3genE9ELNS1_11target_archE1100ELNS1_3gpuE3ELNS1_3repE0EEENS1_30default_config_static_selectorELNS0_4arch9wavefront6targetE0EEEvSR_.num_vgpr, 0
	.set _ZN7rocprim17ROCPRIM_400000_NS6detail17trampoline_kernelINS0_14default_configENS1_22reduce_config_selectorI11minmax_pairIiEEEZNS1_11reduce_implILb1ES3_N6thrust23THRUST_200600_302600_NS11hip_rocprim26transform_input_iterator_tIS6_NSA_6detail15normal_iteratorINSA_10device_ptrIiEEEE15minmax_unary_opIiEEEPS6_S6_16minmax_binary_opIiEEE10hipError_tPvRmT1_T2_T3_mT4_P12ihipStream_tbEUlT_E1_NS1_11comp_targetILNS1_3genE9ELNS1_11target_archE1100ELNS1_3gpuE3ELNS1_3repE0EEENS1_30default_config_static_selectorELNS0_4arch9wavefront6targetE0EEEvSR_.num_agpr, 0
	.set _ZN7rocprim17ROCPRIM_400000_NS6detail17trampoline_kernelINS0_14default_configENS1_22reduce_config_selectorI11minmax_pairIiEEEZNS1_11reduce_implILb1ES3_N6thrust23THRUST_200600_302600_NS11hip_rocprim26transform_input_iterator_tIS6_NSA_6detail15normal_iteratorINSA_10device_ptrIiEEEE15minmax_unary_opIiEEEPS6_S6_16minmax_binary_opIiEEE10hipError_tPvRmT1_T2_T3_mT4_P12ihipStream_tbEUlT_E1_NS1_11comp_targetILNS1_3genE9ELNS1_11target_archE1100ELNS1_3gpuE3ELNS1_3repE0EEENS1_30default_config_static_selectorELNS0_4arch9wavefront6targetE0EEEvSR_.numbered_sgpr, 0
	.set _ZN7rocprim17ROCPRIM_400000_NS6detail17trampoline_kernelINS0_14default_configENS1_22reduce_config_selectorI11minmax_pairIiEEEZNS1_11reduce_implILb1ES3_N6thrust23THRUST_200600_302600_NS11hip_rocprim26transform_input_iterator_tIS6_NSA_6detail15normal_iteratorINSA_10device_ptrIiEEEE15minmax_unary_opIiEEEPS6_S6_16minmax_binary_opIiEEE10hipError_tPvRmT1_T2_T3_mT4_P12ihipStream_tbEUlT_E1_NS1_11comp_targetILNS1_3genE9ELNS1_11target_archE1100ELNS1_3gpuE3ELNS1_3repE0EEENS1_30default_config_static_selectorELNS0_4arch9wavefront6targetE0EEEvSR_.num_named_barrier, 0
	.set _ZN7rocprim17ROCPRIM_400000_NS6detail17trampoline_kernelINS0_14default_configENS1_22reduce_config_selectorI11minmax_pairIiEEEZNS1_11reduce_implILb1ES3_N6thrust23THRUST_200600_302600_NS11hip_rocprim26transform_input_iterator_tIS6_NSA_6detail15normal_iteratorINSA_10device_ptrIiEEEE15minmax_unary_opIiEEEPS6_S6_16minmax_binary_opIiEEE10hipError_tPvRmT1_T2_T3_mT4_P12ihipStream_tbEUlT_E1_NS1_11comp_targetILNS1_3genE9ELNS1_11target_archE1100ELNS1_3gpuE3ELNS1_3repE0EEENS1_30default_config_static_selectorELNS0_4arch9wavefront6targetE0EEEvSR_.private_seg_size, 0
	.set _ZN7rocprim17ROCPRIM_400000_NS6detail17trampoline_kernelINS0_14default_configENS1_22reduce_config_selectorI11minmax_pairIiEEEZNS1_11reduce_implILb1ES3_N6thrust23THRUST_200600_302600_NS11hip_rocprim26transform_input_iterator_tIS6_NSA_6detail15normal_iteratorINSA_10device_ptrIiEEEE15minmax_unary_opIiEEEPS6_S6_16minmax_binary_opIiEEE10hipError_tPvRmT1_T2_T3_mT4_P12ihipStream_tbEUlT_E1_NS1_11comp_targetILNS1_3genE9ELNS1_11target_archE1100ELNS1_3gpuE3ELNS1_3repE0EEENS1_30default_config_static_selectorELNS0_4arch9wavefront6targetE0EEEvSR_.uses_vcc, 0
	.set _ZN7rocprim17ROCPRIM_400000_NS6detail17trampoline_kernelINS0_14default_configENS1_22reduce_config_selectorI11minmax_pairIiEEEZNS1_11reduce_implILb1ES3_N6thrust23THRUST_200600_302600_NS11hip_rocprim26transform_input_iterator_tIS6_NSA_6detail15normal_iteratorINSA_10device_ptrIiEEEE15minmax_unary_opIiEEEPS6_S6_16minmax_binary_opIiEEE10hipError_tPvRmT1_T2_T3_mT4_P12ihipStream_tbEUlT_E1_NS1_11comp_targetILNS1_3genE9ELNS1_11target_archE1100ELNS1_3gpuE3ELNS1_3repE0EEENS1_30default_config_static_selectorELNS0_4arch9wavefront6targetE0EEEvSR_.uses_flat_scratch, 0
	.set _ZN7rocprim17ROCPRIM_400000_NS6detail17trampoline_kernelINS0_14default_configENS1_22reduce_config_selectorI11minmax_pairIiEEEZNS1_11reduce_implILb1ES3_N6thrust23THRUST_200600_302600_NS11hip_rocprim26transform_input_iterator_tIS6_NSA_6detail15normal_iteratorINSA_10device_ptrIiEEEE15minmax_unary_opIiEEEPS6_S6_16minmax_binary_opIiEEE10hipError_tPvRmT1_T2_T3_mT4_P12ihipStream_tbEUlT_E1_NS1_11comp_targetILNS1_3genE9ELNS1_11target_archE1100ELNS1_3gpuE3ELNS1_3repE0EEENS1_30default_config_static_selectorELNS0_4arch9wavefront6targetE0EEEvSR_.has_dyn_sized_stack, 0
	.set _ZN7rocprim17ROCPRIM_400000_NS6detail17trampoline_kernelINS0_14default_configENS1_22reduce_config_selectorI11minmax_pairIiEEEZNS1_11reduce_implILb1ES3_N6thrust23THRUST_200600_302600_NS11hip_rocprim26transform_input_iterator_tIS6_NSA_6detail15normal_iteratorINSA_10device_ptrIiEEEE15minmax_unary_opIiEEEPS6_S6_16minmax_binary_opIiEEE10hipError_tPvRmT1_T2_T3_mT4_P12ihipStream_tbEUlT_E1_NS1_11comp_targetILNS1_3genE9ELNS1_11target_archE1100ELNS1_3gpuE3ELNS1_3repE0EEENS1_30default_config_static_selectorELNS0_4arch9wavefront6targetE0EEEvSR_.has_recursion, 0
	.set _ZN7rocprim17ROCPRIM_400000_NS6detail17trampoline_kernelINS0_14default_configENS1_22reduce_config_selectorI11minmax_pairIiEEEZNS1_11reduce_implILb1ES3_N6thrust23THRUST_200600_302600_NS11hip_rocprim26transform_input_iterator_tIS6_NSA_6detail15normal_iteratorINSA_10device_ptrIiEEEE15minmax_unary_opIiEEEPS6_S6_16minmax_binary_opIiEEE10hipError_tPvRmT1_T2_T3_mT4_P12ihipStream_tbEUlT_E1_NS1_11comp_targetILNS1_3genE9ELNS1_11target_archE1100ELNS1_3gpuE3ELNS1_3repE0EEENS1_30default_config_static_selectorELNS0_4arch9wavefront6targetE0EEEvSR_.has_indirect_call, 0
	.section	.AMDGPU.csdata,"",@progbits
; Kernel info:
; codeLenInByte = 0
; TotalNumSgprs: 0
; NumVgprs: 0
; ScratchSize: 0
; MemoryBound: 0
; FloatMode: 240
; IeeeMode: 1
; LDSByteSize: 0 bytes/workgroup (compile time only)
; SGPRBlocks: 0
; VGPRBlocks: 0
; NumSGPRsForWavesPerEU: 1
; NumVGPRsForWavesPerEU: 1
; NamedBarCnt: 0
; Occupancy: 16
; WaveLimiterHint : 0
; COMPUTE_PGM_RSRC2:SCRATCH_EN: 0
; COMPUTE_PGM_RSRC2:USER_SGPR: 2
; COMPUTE_PGM_RSRC2:TRAP_HANDLER: 0
; COMPUTE_PGM_RSRC2:TGID_X_EN: 1
; COMPUTE_PGM_RSRC2:TGID_Y_EN: 0
; COMPUTE_PGM_RSRC2:TGID_Z_EN: 0
; COMPUTE_PGM_RSRC2:TIDIG_COMP_CNT: 0
	.section	.text._ZN7rocprim17ROCPRIM_400000_NS6detail17trampoline_kernelINS0_14default_configENS1_22reduce_config_selectorI11minmax_pairIiEEEZNS1_11reduce_implILb1ES3_N6thrust23THRUST_200600_302600_NS11hip_rocprim26transform_input_iterator_tIS6_NSA_6detail15normal_iteratorINSA_10device_ptrIiEEEE15minmax_unary_opIiEEEPS6_S6_16minmax_binary_opIiEEE10hipError_tPvRmT1_T2_T3_mT4_P12ihipStream_tbEUlT_E1_NS1_11comp_targetILNS1_3genE8ELNS1_11target_archE1030ELNS1_3gpuE2ELNS1_3repE0EEENS1_30default_config_static_selectorELNS0_4arch9wavefront6targetE0EEEvSR_,"axG",@progbits,_ZN7rocprim17ROCPRIM_400000_NS6detail17trampoline_kernelINS0_14default_configENS1_22reduce_config_selectorI11minmax_pairIiEEEZNS1_11reduce_implILb1ES3_N6thrust23THRUST_200600_302600_NS11hip_rocprim26transform_input_iterator_tIS6_NSA_6detail15normal_iteratorINSA_10device_ptrIiEEEE15minmax_unary_opIiEEEPS6_S6_16minmax_binary_opIiEEE10hipError_tPvRmT1_T2_T3_mT4_P12ihipStream_tbEUlT_E1_NS1_11comp_targetILNS1_3genE8ELNS1_11target_archE1030ELNS1_3gpuE2ELNS1_3repE0EEENS1_30default_config_static_selectorELNS0_4arch9wavefront6targetE0EEEvSR_,comdat
	.protected	_ZN7rocprim17ROCPRIM_400000_NS6detail17trampoline_kernelINS0_14default_configENS1_22reduce_config_selectorI11minmax_pairIiEEEZNS1_11reduce_implILb1ES3_N6thrust23THRUST_200600_302600_NS11hip_rocprim26transform_input_iterator_tIS6_NSA_6detail15normal_iteratorINSA_10device_ptrIiEEEE15minmax_unary_opIiEEEPS6_S6_16minmax_binary_opIiEEE10hipError_tPvRmT1_T2_T3_mT4_P12ihipStream_tbEUlT_E1_NS1_11comp_targetILNS1_3genE8ELNS1_11target_archE1030ELNS1_3gpuE2ELNS1_3repE0EEENS1_30default_config_static_selectorELNS0_4arch9wavefront6targetE0EEEvSR_ ; -- Begin function _ZN7rocprim17ROCPRIM_400000_NS6detail17trampoline_kernelINS0_14default_configENS1_22reduce_config_selectorI11minmax_pairIiEEEZNS1_11reduce_implILb1ES3_N6thrust23THRUST_200600_302600_NS11hip_rocprim26transform_input_iterator_tIS6_NSA_6detail15normal_iteratorINSA_10device_ptrIiEEEE15minmax_unary_opIiEEEPS6_S6_16minmax_binary_opIiEEE10hipError_tPvRmT1_T2_T3_mT4_P12ihipStream_tbEUlT_E1_NS1_11comp_targetILNS1_3genE8ELNS1_11target_archE1030ELNS1_3gpuE2ELNS1_3repE0EEENS1_30default_config_static_selectorELNS0_4arch9wavefront6targetE0EEEvSR_
	.globl	_ZN7rocprim17ROCPRIM_400000_NS6detail17trampoline_kernelINS0_14default_configENS1_22reduce_config_selectorI11minmax_pairIiEEEZNS1_11reduce_implILb1ES3_N6thrust23THRUST_200600_302600_NS11hip_rocprim26transform_input_iterator_tIS6_NSA_6detail15normal_iteratorINSA_10device_ptrIiEEEE15minmax_unary_opIiEEEPS6_S6_16minmax_binary_opIiEEE10hipError_tPvRmT1_T2_T3_mT4_P12ihipStream_tbEUlT_E1_NS1_11comp_targetILNS1_3genE8ELNS1_11target_archE1030ELNS1_3gpuE2ELNS1_3repE0EEENS1_30default_config_static_selectorELNS0_4arch9wavefront6targetE0EEEvSR_
	.p2align	8
	.type	_ZN7rocprim17ROCPRIM_400000_NS6detail17trampoline_kernelINS0_14default_configENS1_22reduce_config_selectorI11minmax_pairIiEEEZNS1_11reduce_implILb1ES3_N6thrust23THRUST_200600_302600_NS11hip_rocprim26transform_input_iterator_tIS6_NSA_6detail15normal_iteratorINSA_10device_ptrIiEEEE15minmax_unary_opIiEEEPS6_S6_16minmax_binary_opIiEEE10hipError_tPvRmT1_T2_T3_mT4_P12ihipStream_tbEUlT_E1_NS1_11comp_targetILNS1_3genE8ELNS1_11target_archE1030ELNS1_3gpuE2ELNS1_3repE0EEENS1_30default_config_static_selectorELNS0_4arch9wavefront6targetE0EEEvSR_,@function
_ZN7rocprim17ROCPRIM_400000_NS6detail17trampoline_kernelINS0_14default_configENS1_22reduce_config_selectorI11minmax_pairIiEEEZNS1_11reduce_implILb1ES3_N6thrust23THRUST_200600_302600_NS11hip_rocprim26transform_input_iterator_tIS6_NSA_6detail15normal_iteratorINSA_10device_ptrIiEEEE15minmax_unary_opIiEEEPS6_S6_16minmax_binary_opIiEEE10hipError_tPvRmT1_T2_T3_mT4_P12ihipStream_tbEUlT_E1_NS1_11comp_targetILNS1_3genE8ELNS1_11target_archE1030ELNS1_3gpuE2ELNS1_3repE0EEENS1_30default_config_static_selectorELNS0_4arch9wavefront6targetE0EEEvSR_: ; @_ZN7rocprim17ROCPRIM_400000_NS6detail17trampoline_kernelINS0_14default_configENS1_22reduce_config_selectorI11minmax_pairIiEEEZNS1_11reduce_implILb1ES3_N6thrust23THRUST_200600_302600_NS11hip_rocprim26transform_input_iterator_tIS6_NSA_6detail15normal_iteratorINSA_10device_ptrIiEEEE15minmax_unary_opIiEEEPS6_S6_16minmax_binary_opIiEEE10hipError_tPvRmT1_T2_T3_mT4_P12ihipStream_tbEUlT_E1_NS1_11comp_targetILNS1_3genE8ELNS1_11target_archE1030ELNS1_3gpuE2ELNS1_3repE0EEENS1_30default_config_static_selectorELNS0_4arch9wavefront6targetE0EEEvSR_
; %bb.0:
	.section	.rodata,"a",@progbits
	.p2align	6, 0x0
	.amdhsa_kernel _ZN7rocprim17ROCPRIM_400000_NS6detail17trampoline_kernelINS0_14default_configENS1_22reduce_config_selectorI11minmax_pairIiEEEZNS1_11reduce_implILb1ES3_N6thrust23THRUST_200600_302600_NS11hip_rocprim26transform_input_iterator_tIS6_NSA_6detail15normal_iteratorINSA_10device_ptrIiEEEE15minmax_unary_opIiEEEPS6_S6_16minmax_binary_opIiEEE10hipError_tPvRmT1_T2_T3_mT4_P12ihipStream_tbEUlT_E1_NS1_11comp_targetILNS1_3genE8ELNS1_11target_archE1030ELNS1_3gpuE2ELNS1_3repE0EEENS1_30default_config_static_selectorELNS0_4arch9wavefront6targetE0EEEvSR_
		.amdhsa_group_segment_fixed_size 0
		.amdhsa_private_segment_fixed_size 0
		.amdhsa_kernarg_size 56
		.amdhsa_user_sgpr_count 2
		.amdhsa_user_sgpr_dispatch_ptr 0
		.amdhsa_user_sgpr_queue_ptr 0
		.amdhsa_user_sgpr_kernarg_segment_ptr 1
		.amdhsa_user_sgpr_dispatch_id 0
		.amdhsa_user_sgpr_kernarg_preload_length 0
		.amdhsa_user_sgpr_kernarg_preload_offset 0
		.amdhsa_user_sgpr_private_segment_size 0
		.amdhsa_wavefront_size32 1
		.amdhsa_uses_dynamic_stack 0
		.amdhsa_enable_private_segment 0
		.amdhsa_system_sgpr_workgroup_id_x 1
		.amdhsa_system_sgpr_workgroup_id_y 0
		.amdhsa_system_sgpr_workgroup_id_z 0
		.amdhsa_system_sgpr_workgroup_info 0
		.amdhsa_system_vgpr_workitem_id 0
		.amdhsa_next_free_vgpr 1
		.amdhsa_next_free_sgpr 1
		.amdhsa_named_barrier_count 0
		.amdhsa_reserve_vcc 0
		.amdhsa_float_round_mode_32 0
		.amdhsa_float_round_mode_16_64 0
		.amdhsa_float_denorm_mode_32 3
		.amdhsa_float_denorm_mode_16_64 3
		.amdhsa_fp16_overflow 0
		.amdhsa_memory_ordered 1
		.amdhsa_forward_progress 1
		.amdhsa_inst_pref_size 0
		.amdhsa_round_robin_scheduling 0
		.amdhsa_exception_fp_ieee_invalid_op 0
		.amdhsa_exception_fp_denorm_src 0
		.amdhsa_exception_fp_ieee_div_zero 0
		.amdhsa_exception_fp_ieee_overflow 0
		.amdhsa_exception_fp_ieee_underflow 0
		.amdhsa_exception_fp_ieee_inexact 0
		.amdhsa_exception_int_div_zero 0
	.end_amdhsa_kernel
	.section	.text._ZN7rocprim17ROCPRIM_400000_NS6detail17trampoline_kernelINS0_14default_configENS1_22reduce_config_selectorI11minmax_pairIiEEEZNS1_11reduce_implILb1ES3_N6thrust23THRUST_200600_302600_NS11hip_rocprim26transform_input_iterator_tIS6_NSA_6detail15normal_iteratorINSA_10device_ptrIiEEEE15minmax_unary_opIiEEEPS6_S6_16minmax_binary_opIiEEE10hipError_tPvRmT1_T2_T3_mT4_P12ihipStream_tbEUlT_E1_NS1_11comp_targetILNS1_3genE8ELNS1_11target_archE1030ELNS1_3gpuE2ELNS1_3repE0EEENS1_30default_config_static_selectorELNS0_4arch9wavefront6targetE0EEEvSR_,"axG",@progbits,_ZN7rocprim17ROCPRIM_400000_NS6detail17trampoline_kernelINS0_14default_configENS1_22reduce_config_selectorI11minmax_pairIiEEEZNS1_11reduce_implILb1ES3_N6thrust23THRUST_200600_302600_NS11hip_rocprim26transform_input_iterator_tIS6_NSA_6detail15normal_iteratorINSA_10device_ptrIiEEEE15minmax_unary_opIiEEEPS6_S6_16minmax_binary_opIiEEE10hipError_tPvRmT1_T2_T3_mT4_P12ihipStream_tbEUlT_E1_NS1_11comp_targetILNS1_3genE8ELNS1_11target_archE1030ELNS1_3gpuE2ELNS1_3repE0EEENS1_30default_config_static_selectorELNS0_4arch9wavefront6targetE0EEEvSR_,comdat
.Lfunc_end36:
	.size	_ZN7rocprim17ROCPRIM_400000_NS6detail17trampoline_kernelINS0_14default_configENS1_22reduce_config_selectorI11minmax_pairIiEEEZNS1_11reduce_implILb1ES3_N6thrust23THRUST_200600_302600_NS11hip_rocprim26transform_input_iterator_tIS6_NSA_6detail15normal_iteratorINSA_10device_ptrIiEEEE15minmax_unary_opIiEEEPS6_S6_16minmax_binary_opIiEEE10hipError_tPvRmT1_T2_T3_mT4_P12ihipStream_tbEUlT_E1_NS1_11comp_targetILNS1_3genE8ELNS1_11target_archE1030ELNS1_3gpuE2ELNS1_3repE0EEENS1_30default_config_static_selectorELNS0_4arch9wavefront6targetE0EEEvSR_, .Lfunc_end36-_ZN7rocprim17ROCPRIM_400000_NS6detail17trampoline_kernelINS0_14default_configENS1_22reduce_config_selectorI11minmax_pairIiEEEZNS1_11reduce_implILb1ES3_N6thrust23THRUST_200600_302600_NS11hip_rocprim26transform_input_iterator_tIS6_NSA_6detail15normal_iteratorINSA_10device_ptrIiEEEE15minmax_unary_opIiEEEPS6_S6_16minmax_binary_opIiEEE10hipError_tPvRmT1_T2_T3_mT4_P12ihipStream_tbEUlT_E1_NS1_11comp_targetILNS1_3genE8ELNS1_11target_archE1030ELNS1_3gpuE2ELNS1_3repE0EEENS1_30default_config_static_selectorELNS0_4arch9wavefront6targetE0EEEvSR_
                                        ; -- End function
	.set _ZN7rocprim17ROCPRIM_400000_NS6detail17trampoline_kernelINS0_14default_configENS1_22reduce_config_selectorI11minmax_pairIiEEEZNS1_11reduce_implILb1ES3_N6thrust23THRUST_200600_302600_NS11hip_rocprim26transform_input_iterator_tIS6_NSA_6detail15normal_iteratorINSA_10device_ptrIiEEEE15minmax_unary_opIiEEEPS6_S6_16minmax_binary_opIiEEE10hipError_tPvRmT1_T2_T3_mT4_P12ihipStream_tbEUlT_E1_NS1_11comp_targetILNS1_3genE8ELNS1_11target_archE1030ELNS1_3gpuE2ELNS1_3repE0EEENS1_30default_config_static_selectorELNS0_4arch9wavefront6targetE0EEEvSR_.num_vgpr, 0
	.set _ZN7rocprim17ROCPRIM_400000_NS6detail17trampoline_kernelINS0_14default_configENS1_22reduce_config_selectorI11minmax_pairIiEEEZNS1_11reduce_implILb1ES3_N6thrust23THRUST_200600_302600_NS11hip_rocprim26transform_input_iterator_tIS6_NSA_6detail15normal_iteratorINSA_10device_ptrIiEEEE15minmax_unary_opIiEEEPS6_S6_16minmax_binary_opIiEEE10hipError_tPvRmT1_T2_T3_mT4_P12ihipStream_tbEUlT_E1_NS1_11comp_targetILNS1_3genE8ELNS1_11target_archE1030ELNS1_3gpuE2ELNS1_3repE0EEENS1_30default_config_static_selectorELNS0_4arch9wavefront6targetE0EEEvSR_.num_agpr, 0
	.set _ZN7rocprim17ROCPRIM_400000_NS6detail17trampoline_kernelINS0_14default_configENS1_22reduce_config_selectorI11minmax_pairIiEEEZNS1_11reduce_implILb1ES3_N6thrust23THRUST_200600_302600_NS11hip_rocprim26transform_input_iterator_tIS6_NSA_6detail15normal_iteratorINSA_10device_ptrIiEEEE15minmax_unary_opIiEEEPS6_S6_16minmax_binary_opIiEEE10hipError_tPvRmT1_T2_T3_mT4_P12ihipStream_tbEUlT_E1_NS1_11comp_targetILNS1_3genE8ELNS1_11target_archE1030ELNS1_3gpuE2ELNS1_3repE0EEENS1_30default_config_static_selectorELNS0_4arch9wavefront6targetE0EEEvSR_.numbered_sgpr, 0
	.set _ZN7rocprim17ROCPRIM_400000_NS6detail17trampoline_kernelINS0_14default_configENS1_22reduce_config_selectorI11minmax_pairIiEEEZNS1_11reduce_implILb1ES3_N6thrust23THRUST_200600_302600_NS11hip_rocprim26transform_input_iterator_tIS6_NSA_6detail15normal_iteratorINSA_10device_ptrIiEEEE15minmax_unary_opIiEEEPS6_S6_16minmax_binary_opIiEEE10hipError_tPvRmT1_T2_T3_mT4_P12ihipStream_tbEUlT_E1_NS1_11comp_targetILNS1_3genE8ELNS1_11target_archE1030ELNS1_3gpuE2ELNS1_3repE0EEENS1_30default_config_static_selectorELNS0_4arch9wavefront6targetE0EEEvSR_.num_named_barrier, 0
	.set _ZN7rocprim17ROCPRIM_400000_NS6detail17trampoline_kernelINS0_14default_configENS1_22reduce_config_selectorI11minmax_pairIiEEEZNS1_11reduce_implILb1ES3_N6thrust23THRUST_200600_302600_NS11hip_rocprim26transform_input_iterator_tIS6_NSA_6detail15normal_iteratorINSA_10device_ptrIiEEEE15minmax_unary_opIiEEEPS6_S6_16minmax_binary_opIiEEE10hipError_tPvRmT1_T2_T3_mT4_P12ihipStream_tbEUlT_E1_NS1_11comp_targetILNS1_3genE8ELNS1_11target_archE1030ELNS1_3gpuE2ELNS1_3repE0EEENS1_30default_config_static_selectorELNS0_4arch9wavefront6targetE0EEEvSR_.private_seg_size, 0
	.set _ZN7rocprim17ROCPRIM_400000_NS6detail17trampoline_kernelINS0_14default_configENS1_22reduce_config_selectorI11minmax_pairIiEEEZNS1_11reduce_implILb1ES3_N6thrust23THRUST_200600_302600_NS11hip_rocprim26transform_input_iterator_tIS6_NSA_6detail15normal_iteratorINSA_10device_ptrIiEEEE15minmax_unary_opIiEEEPS6_S6_16minmax_binary_opIiEEE10hipError_tPvRmT1_T2_T3_mT4_P12ihipStream_tbEUlT_E1_NS1_11comp_targetILNS1_3genE8ELNS1_11target_archE1030ELNS1_3gpuE2ELNS1_3repE0EEENS1_30default_config_static_selectorELNS0_4arch9wavefront6targetE0EEEvSR_.uses_vcc, 0
	.set _ZN7rocprim17ROCPRIM_400000_NS6detail17trampoline_kernelINS0_14default_configENS1_22reduce_config_selectorI11minmax_pairIiEEEZNS1_11reduce_implILb1ES3_N6thrust23THRUST_200600_302600_NS11hip_rocprim26transform_input_iterator_tIS6_NSA_6detail15normal_iteratorINSA_10device_ptrIiEEEE15minmax_unary_opIiEEEPS6_S6_16minmax_binary_opIiEEE10hipError_tPvRmT1_T2_T3_mT4_P12ihipStream_tbEUlT_E1_NS1_11comp_targetILNS1_3genE8ELNS1_11target_archE1030ELNS1_3gpuE2ELNS1_3repE0EEENS1_30default_config_static_selectorELNS0_4arch9wavefront6targetE0EEEvSR_.uses_flat_scratch, 0
	.set _ZN7rocprim17ROCPRIM_400000_NS6detail17trampoline_kernelINS0_14default_configENS1_22reduce_config_selectorI11minmax_pairIiEEEZNS1_11reduce_implILb1ES3_N6thrust23THRUST_200600_302600_NS11hip_rocprim26transform_input_iterator_tIS6_NSA_6detail15normal_iteratorINSA_10device_ptrIiEEEE15minmax_unary_opIiEEEPS6_S6_16minmax_binary_opIiEEE10hipError_tPvRmT1_T2_T3_mT4_P12ihipStream_tbEUlT_E1_NS1_11comp_targetILNS1_3genE8ELNS1_11target_archE1030ELNS1_3gpuE2ELNS1_3repE0EEENS1_30default_config_static_selectorELNS0_4arch9wavefront6targetE0EEEvSR_.has_dyn_sized_stack, 0
	.set _ZN7rocprim17ROCPRIM_400000_NS6detail17trampoline_kernelINS0_14default_configENS1_22reduce_config_selectorI11minmax_pairIiEEEZNS1_11reduce_implILb1ES3_N6thrust23THRUST_200600_302600_NS11hip_rocprim26transform_input_iterator_tIS6_NSA_6detail15normal_iteratorINSA_10device_ptrIiEEEE15minmax_unary_opIiEEEPS6_S6_16minmax_binary_opIiEEE10hipError_tPvRmT1_T2_T3_mT4_P12ihipStream_tbEUlT_E1_NS1_11comp_targetILNS1_3genE8ELNS1_11target_archE1030ELNS1_3gpuE2ELNS1_3repE0EEENS1_30default_config_static_selectorELNS0_4arch9wavefront6targetE0EEEvSR_.has_recursion, 0
	.set _ZN7rocprim17ROCPRIM_400000_NS6detail17trampoline_kernelINS0_14default_configENS1_22reduce_config_selectorI11minmax_pairIiEEEZNS1_11reduce_implILb1ES3_N6thrust23THRUST_200600_302600_NS11hip_rocprim26transform_input_iterator_tIS6_NSA_6detail15normal_iteratorINSA_10device_ptrIiEEEE15minmax_unary_opIiEEEPS6_S6_16minmax_binary_opIiEEE10hipError_tPvRmT1_T2_T3_mT4_P12ihipStream_tbEUlT_E1_NS1_11comp_targetILNS1_3genE8ELNS1_11target_archE1030ELNS1_3gpuE2ELNS1_3repE0EEENS1_30default_config_static_selectorELNS0_4arch9wavefront6targetE0EEEvSR_.has_indirect_call, 0
	.section	.AMDGPU.csdata,"",@progbits
; Kernel info:
; codeLenInByte = 0
; TotalNumSgprs: 0
; NumVgprs: 0
; ScratchSize: 0
; MemoryBound: 0
; FloatMode: 240
; IeeeMode: 1
; LDSByteSize: 0 bytes/workgroup (compile time only)
; SGPRBlocks: 0
; VGPRBlocks: 0
; NumSGPRsForWavesPerEU: 1
; NumVGPRsForWavesPerEU: 1
; NamedBarCnt: 0
; Occupancy: 16
; WaveLimiterHint : 0
; COMPUTE_PGM_RSRC2:SCRATCH_EN: 0
; COMPUTE_PGM_RSRC2:USER_SGPR: 2
; COMPUTE_PGM_RSRC2:TRAP_HANDLER: 0
; COMPUTE_PGM_RSRC2:TGID_X_EN: 1
; COMPUTE_PGM_RSRC2:TGID_Y_EN: 0
; COMPUTE_PGM_RSRC2:TGID_Z_EN: 0
; COMPUTE_PGM_RSRC2:TIDIG_COMP_CNT: 0
	.section	.AMDGPU.gpr_maximums,"",@progbits
	.set amdgpu.max_num_vgpr, 0
	.set amdgpu.max_num_agpr, 0
	.set amdgpu.max_num_sgpr, 0
	.section	.AMDGPU.csdata,"",@progbits
	.type	__hip_cuid_21c6d4169e09be6f,@object ; @__hip_cuid_21c6d4169e09be6f
	.section	.bss,"aw",@nobits
	.globl	__hip_cuid_21c6d4169e09be6f
__hip_cuid_21c6d4169e09be6f:
	.byte	0                               ; 0x0
	.size	__hip_cuid_21c6d4169e09be6f, 1

	.ident	"AMD clang version 22.0.0git (https://github.com/RadeonOpenCompute/llvm-project roc-7.2.4 26084 f58b06dce1f9c15707c5f808fd002e18c2accf7e)"
	.section	".note.GNU-stack","",@progbits
	.addrsig
	.addrsig_sym __hip_cuid_21c6d4169e09be6f
	.amdgpu_metadata
---
amdhsa.kernels:
  - .args:
      - .offset:         0
        .size:           16
        .value_kind:     by_value
      - .offset:         16
        .size:           8
        .value_kind:     by_value
      - .offset:         24
        .size:           8
        .value_kind:     by_value
    .group_segment_fixed_size: 0
    .kernarg_segment_align: 8
    .kernarg_segment_size: 32
    .language:       OpenCL C
    .language_version:
      - 2
      - 0
    .max_flat_workgroup_size: 256
    .name:           _ZN6thrust23THRUST_200600_302600_NS11hip_rocprim14__parallel_for6kernelILj256ENS1_20__uninitialized_fill7functorINS0_10device_ptrIiEEiEEmLj1EEEvT0_T1_SA_
    .private_segment_fixed_size: 0
    .sgpr_count:     14
    .sgpr_spill_count: 0
    .symbol:         _ZN6thrust23THRUST_200600_302600_NS11hip_rocprim14__parallel_for6kernelILj256ENS1_20__uninitialized_fill7functorINS0_10device_ptrIiEEiEEmLj1EEEvT0_T1_SA_.kd
    .uniform_work_group_size: 1
    .uses_dynamic_stack: false
    .vgpr_count:     2
    .vgpr_spill_count: 0
    .wavefront_size: 32
  - .args:
      - .offset:         0
        .size:           64
        .value_kind:     by_value
    .group_segment_fixed_size: 128
    .kernarg_segment_align: 8
    .kernarg_segment_size: 64
    .language:       OpenCL C
    .language_version:
      - 2
      - 0
    .max_flat_workgroup_size: 256
    .name:           _ZN7rocprim17ROCPRIM_400000_NS6detail17trampoline_kernelINS0_14default_configENS1_22reduce_config_selectorI11minmax_pairIiEEEZNS1_11reduce_implILb1ES3_PS6_S9_S6_16minmax_binary_opIiEEE10hipError_tPvRmT1_T2_T3_mT4_P12ihipStream_tbEUlT_E0_NS1_11comp_targetILNS1_3genE0ELNS1_11target_archE4294967295ELNS1_3gpuE0ELNS1_3repE0EEENS1_30default_config_static_selectorELNS0_4arch9wavefront6targetE0EEEvSF_
    .private_segment_fixed_size: 0
    .sgpr_count:     32
    .sgpr_spill_count: 0
    .symbol:         _ZN7rocprim17ROCPRIM_400000_NS6detail17trampoline_kernelINS0_14default_configENS1_22reduce_config_selectorI11minmax_pairIiEEEZNS1_11reduce_implILb1ES3_PS6_S9_S6_16minmax_binary_opIiEEE10hipError_tPvRmT1_T2_T3_mT4_P12ihipStream_tbEUlT_E0_NS1_11comp_targetILNS1_3genE0ELNS1_11target_archE4294967295ELNS1_3gpuE0ELNS1_3repE0EEENS1_30default_config_static_selectorELNS0_4arch9wavefront6targetE0EEEvSF_.kd
    .uniform_work_group_size: 1
    .uses_dynamic_stack: false
    .vgpr_count:     34
    .vgpr_spill_count: 0
    .wavefront_size: 32
  - .args:
      - .offset:         0
        .size:           64
        .value_kind:     by_value
    .group_segment_fixed_size: 0
    .kernarg_segment_align: 8
    .kernarg_segment_size: 64
    .language:       OpenCL C
    .language_version:
      - 2
      - 0
    .max_flat_workgroup_size: 256
    .name:           _ZN7rocprim17ROCPRIM_400000_NS6detail17trampoline_kernelINS0_14default_configENS1_22reduce_config_selectorI11minmax_pairIiEEEZNS1_11reduce_implILb1ES3_PS6_S9_S6_16minmax_binary_opIiEEE10hipError_tPvRmT1_T2_T3_mT4_P12ihipStream_tbEUlT_E0_NS1_11comp_targetILNS1_3genE5ELNS1_11target_archE942ELNS1_3gpuE9ELNS1_3repE0EEENS1_30default_config_static_selectorELNS0_4arch9wavefront6targetE0EEEvSF_
    .private_segment_fixed_size: 0
    .sgpr_count:     0
    .sgpr_spill_count: 0
    .symbol:         _ZN7rocprim17ROCPRIM_400000_NS6detail17trampoline_kernelINS0_14default_configENS1_22reduce_config_selectorI11minmax_pairIiEEEZNS1_11reduce_implILb1ES3_PS6_S9_S6_16minmax_binary_opIiEEE10hipError_tPvRmT1_T2_T3_mT4_P12ihipStream_tbEUlT_E0_NS1_11comp_targetILNS1_3genE5ELNS1_11target_archE942ELNS1_3gpuE9ELNS1_3repE0EEENS1_30default_config_static_selectorELNS0_4arch9wavefront6targetE0EEEvSF_.kd
    .uniform_work_group_size: 1
    .uses_dynamic_stack: false
    .vgpr_count:     0
    .vgpr_spill_count: 0
    .wavefront_size: 32
  - .args:
      - .offset:         0
        .size:           64
        .value_kind:     by_value
    .group_segment_fixed_size: 0
    .kernarg_segment_align: 8
    .kernarg_segment_size: 64
    .language:       OpenCL C
    .language_version:
      - 2
      - 0
    .max_flat_workgroup_size: 256
    .name:           _ZN7rocprim17ROCPRIM_400000_NS6detail17trampoline_kernelINS0_14default_configENS1_22reduce_config_selectorI11minmax_pairIiEEEZNS1_11reduce_implILb1ES3_PS6_S9_S6_16minmax_binary_opIiEEE10hipError_tPvRmT1_T2_T3_mT4_P12ihipStream_tbEUlT_E0_NS1_11comp_targetILNS1_3genE4ELNS1_11target_archE910ELNS1_3gpuE8ELNS1_3repE0EEENS1_30default_config_static_selectorELNS0_4arch9wavefront6targetE0EEEvSF_
    .private_segment_fixed_size: 0
    .sgpr_count:     0
    .sgpr_spill_count: 0
    .symbol:         _ZN7rocprim17ROCPRIM_400000_NS6detail17trampoline_kernelINS0_14default_configENS1_22reduce_config_selectorI11minmax_pairIiEEEZNS1_11reduce_implILb1ES3_PS6_S9_S6_16minmax_binary_opIiEEE10hipError_tPvRmT1_T2_T3_mT4_P12ihipStream_tbEUlT_E0_NS1_11comp_targetILNS1_3genE4ELNS1_11target_archE910ELNS1_3gpuE8ELNS1_3repE0EEENS1_30default_config_static_selectorELNS0_4arch9wavefront6targetE0EEEvSF_.kd
    .uniform_work_group_size: 1
    .uses_dynamic_stack: false
    .vgpr_count:     0
    .vgpr_spill_count: 0
    .wavefront_size: 32
  - .args:
      - .offset:         0
        .size:           64
        .value_kind:     by_value
    .group_segment_fixed_size: 0
    .kernarg_segment_align: 8
    .kernarg_segment_size: 64
    .language:       OpenCL C
    .language_version:
      - 2
      - 0
    .max_flat_workgroup_size: 256
    .name:           _ZN7rocprim17ROCPRIM_400000_NS6detail17trampoline_kernelINS0_14default_configENS1_22reduce_config_selectorI11minmax_pairIiEEEZNS1_11reduce_implILb1ES3_PS6_S9_S6_16minmax_binary_opIiEEE10hipError_tPvRmT1_T2_T3_mT4_P12ihipStream_tbEUlT_E0_NS1_11comp_targetILNS1_3genE3ELNS1_11target_archE908ELNS1_3gpuE7ELNS1_3repE0EEENS1_30default_config_static_selectorELNS0_4arch9wavefront6targetE0EEEvSF_
    .private_segment_fixed_size: 0
    .sgpr_count:     0
    .sgpr_spill_count: 0
    .symbol:         _ZN7rocprim17ROCPRIM_400000_NS6detail17trampoline_kernelINS0_14default_configENS1_22reduce_config_selectorI11minmax_pairIiEEEZNS1_11reduce_implILb1ES3_PS6_S9_S6_16minmax_binary_opIiEEE10hipError_tPvRmT1_T2_T3_mT4_P12ihipStream_tbEUlT_E0_NS1_11comp_targetILNS1_3genE3ELNS1_11target_archE908ELNS1_3gpuE7ELNS1_3repE0EEENS1_30default_config_static_selectorELNS0_4arch9wavefront6targetE0EEEvSF_.kd
    .uniform_work_group_size: 1
    .uses_dynamic_stack: false
    .vgpr_count:     0
    .vgpr_spill_count: 0
    .wavefront_size: 32
  - .args:
      - .offset:         0
        .size:           64
        .value_kind:     by_value
    .group_segment_fixed_size: 0
    .kernarg_segment_align: 8
    .kernarg_segment_size: 64
    .language:       OpenCL C
    .language_version:
      - 2
      - 0
    .max_flat_workgroup_size: 256
    .name:           _ZN7rocprim17ROCPRIM_400000_NS6detail17trampoline_kernelINS0_14default_configENS1_22reduce_config_selectorI11minmax_pairIiEEEZNS1_11reduce_implILb1ES3_PS6_S9_S6_16minmax_binary_opIiEEE10hipError_tPvRmT1_T2_T3_mT4_P12ihipStream_tbEUlT_E0_NS1_11comp_targetILNS1_3genE2ELNS1_11target_archE906ELNS1_3gpuE6ELNS1_3repE0EEENS1_30default_config_static_selectorELNS0_4arch9wavefront6targetE0EEEvSF_
    .private_segment_fixed_size: 0
    .sgpr_count:     0
    .sgpr_spill_count: 0
    .symbol:         _ZN7rocprim17ROCPRIM_400000_NS6detail17trampoline_kernelINS0_14default_configENS1_22reduce_config_selectorI11minmax_pairIiEEEZNS1_11reduce_implILb1ES3_PS6_S9_S6_16minmax_binary_opIiEEE10hipError_tPvRmT1_T2_T3_mT4_P12ihipStream_tbEUlT_E0_NS1_11comp_targetILNS1_3genE2ELNS1_11target_archE906ELNS1_3gpuE6ELNS1_3repE0EEENS1_30default_config_static_selectorELNS0_4arch9wavefront6targetE0EEEvSF_.kd
    .uniform_work_group_size: 1
    .uses_dynamic_stack: false
    .vgpr_count:     0
    .vgpr_spill_count: 0
    .wavefront_size: 32
  - .args:
      - .offset:         0
        .size:           64
        .value_kind:     by_value
    .group_segment_fixed_size: 0
    .kernarg_segment_align: 8
    .kernarg_segment_size: 64
    .language:       OpenCL C
    .language_version:
      - 2
      - 0
    .max_flat_workgroup_size: 256
    .name:           _ZN7rocprim17ROCPRIM_400000_NS6detail17trampoline_kernelINS0_14default_configENS1_22reduce_config_selectorI11minmax_pairIiEEEZNS1_11reduce_implILb1ES3_PS6_S9_S6_16minmax_binary_opIiEEE10hipError_tPvRmT1_T2_T3_mT4_P12ihipStream_tbEUlT_E0_NS1_11comp_targetILNS1_3genE10ELNS1_11target_archE1201ELNS1_3gpuE5ELNS1_3repE0EEENS1_30default_config_static_selectorELNS0_4arch9wavefront6targetE0EEEvSF_
    .private_segment_fixed_size: 0
    .sgpr_count:     0
    .sgpr_spill_count: 0
    .symbol:         _ZN7rocprim17ROCPRIM_400000_NS6detail17trampoline_kernelINS0_14default_configENS1_22reduce_config_selectorI11minmax_pairIiEEEZNS1_11reduce_implILb1ES3_PS6_S9_S6_16minmax_binary_opIiEEE10hipError_tPvRmT1_T2_T3_mT4_P12ihipStream_tbEUlT_E0_NS1_11comp_targetILNS1_3genE10ELNS1_11target_archE1201ELNS1_3gpuE5ELNS1_3repE0EEENS1_30default_config_static_selectorELNS0_4arch9wavefront6targetE0EEEvSF_.kd
    .uniform_work_group_size: 1
    .uses_dynamic_stack: false
    .vgpr_count:     0
    .vgpr_spill_count: 0
    .wavefront_size: 32
  - .args:
      - .offset:         0
        .size:           64
        .value_kind:     by_value
    .group_segment_fixed_size: 0
    .kernarg_segment_align: 8
    .kernarg_segment_size: 64
    .language:       OpenCL C
    .language_version:
      - 2
      - 0
    .max_flat_workgroup_size: 256
    .name:           _ZN7rocprim17ROCPRIM_400000_NS6detail17trampoline_kernelINS0_14default_configENS1_22reduce_config_selectorI11minmax_pairIiEEEZNS1_11reduce_implILb1ES3_PS6_S9_S6_16minmax_binary_opIiEEE10hipError_tPvRmT1_T2_T3_mT4_P12ihipStream_tbEUlT_E0_NS1_11comp_targetILNS1_3genE10ELNS1_11target_archE1200ELNS1_3gpuE4ELNS1_3repE0EEENS1_30default_config_static_selectorELNS0_4arch9wavefront6targetE0EEEvSF_
    .private_segment_fixed_size: 0
    .sgpr_count:     0
    .sgpr_spill_count: 0
    .symbol:         _ZN7rocprim17ROCPRIM_400000_NS6detail17trampoline_kernelINS0_14default_configENS1_22reduce_config_selectorI11minmax_pairIiEEEZNS1_11reduce_implILb1ES3_PS6_S9_S6_16minmax_binary_opIiEEE10hipError_tPvRmT1_T2_T3_mT4_P12ihipStream_tbEUlT_E0_NS1_11comp_targetILNS1_3genE10ELNS1_11target_archE1200ELNS1_3gpuE4ELNS1_3repE0EEENS1_30default_config_static_selectorELNS0_4arch9wavefront6targetE0EEEvSF_.kd
    .uniform_work_group_size: 1
    .uses_dynamic_stack: false
    .vgpr_count:     0
    .vgpr_spill_count: 0
    .wavefront_size: 32
  - .args:
      - .offset:         0
        .size:           64
        .value_kind:     by_value
    .group_segment_fixed_size: 0
    .kernarg_segment_align: 8
    .kernarg_segment_size: 64
    .language:       OpenCL C
    .language_version:
      - 2
      - 0
    .max_flat_workgroup_size: 256
    .name:           _ZN7rocprim17ROCPRIM_400000_NS6detail17trampoline_kernelINS0_14default_configENS1_22reduce_config_selectorI11minmax_pairIiEEEZNS1_11reduce_implILb1ES3_PS6_S9_S6_16minmax_binary_opIiEEE10hipError_tPvRmT1_T2_T3_mT4_P12ihipStream_tbEUlT_E0_NS1_11comp_targetILNS1_3genE9ELNS1_11target_archE1100ELNS1_3gpuE3ELNS1_3repE0EEENS1_30default_config_static_selectorELNS0_4arch9wavefront6targetE0EEEvSF_
    .private_segment_fixed_size: 0
    .sgpr_count:     0
    .sgpr_spill_count: 0
    .symbol:         _ZN7rocprim17ROCPRIM_400000_NS6detail17trampoline_kernelINS0_14default_configENS1_22reduce_config_selectorI11minmax_pairIiEEEZNS1_11reduce_implILb1ES3_PS6_S9_S6_16minmax_binary_opIiEEE10hipError_tPvRmT1_T2_T3_mT4_P12ihipStream_tbEUlT_E0_NS1_11comp_targetILNS1_3genE9ELNS1_11target_archE1100ELNS1_3gpuE3ELNS1_3repE0EEENS1_30default_config_static_selectorELNS0_4arch9wavefront6targetE0EEEvSF_.kd
    .uniform_work_group_size: 1
    .uses_dynamic_stack: false
    .vgpr_count:     0
    .vgpr_spill_count: 0
    .wavefront_size: 32
  - .args:
      - .offset:         0
        .size:           64
        .value_kind:     by_value
    .group_segment_fixed_size: 0
    .kernarg_segment_align: 8
    .kernarg_segment_size: 64
    .language:       OpenCL C
    .language_version:
      - 2
      - 0
    .max_flat_workgroup_size: 256
    .name:           _ZN7rocprim17ROCPRIM_400000_NS6detail17trampoline_kernelINS0_14default_configENS1_22reduce_config_selectorI11minmax_pairIiEEEZNS1_11reduce_implILb1ES3_PS6_S9_S6_16minmax_binary_opIiEEE10hipError_tPvRmT1_T2_T3_mT4_P12ihipStream_tbEUlT_E0_NS1_11comp_targetILNS1_3genE8ELNS1_11target_archE1030ELNS1_3gpuE2ELNS1_3repE0EEENS1_30default_config_static_selectorELNS0_4arch9wavefront6targetE0EEEvSF_
    .private_segment_fixed_size: 0
    .sgpr_count:     0
    .sgpr_spill_count: 0
    .symbol:         _ZN7rocprim17ROCPRIM_400000_NS6detail17trampoline_kernelINS0_14default_configENS1_22reduce_config_selectorI11minmax_pairIiEEEZNS1_11reduce_implILb1ES3_PS6_S9_S6_16minmax_binary_opIiEEE10hipError_tPvRmT1_T2_T3_mT4_P12ihipStream_tbEUlT_E0_NS1_11comp_targetILNS1_3genE8ELNS1_11target_archE1030ELNS1_3gpuE2ELNS1_3repE0EEENS1_30default_config_static_selectorELNS0_4arch9wavefront6targetE0EEEvSF_.kd
    .uniform_work_group_size: 1
    .uses_dynamic_stack: false
    .vgpr_count:     0
    .vgpr_spill_count: 0
    .wavefront_size: 32
  - .args:
      - .offset:         0
        .size:           48
        .value_kind:     by_value
    .group_segment_fixed_size: 384
    .kernarg_segment_align: 8
    .kernarg_segment_size: 48
    .language:       OpenCL C
    .language_version:
      - 2
      - 0
    .max_flat_workgroup_size: 256
    .name:           _ZN7rocprim17ROCPRIM_400000_NS6detail17trampoline_kernelINS0_14default_configENS1_22reduce_config_selectorI11minmax_pairIiEEEZNS1_11reduce_implILb1ES3_PS6_S9_S6_16minmax_binary_opIiEEE10hipError_tPvRmT1_T2_T3_mT4_P12ihipStream_tbEUlT_E1_NS1_11comp_targetILNS1_3genE0ELNS1_11target_archE4294967295ELNS1_3gpuE0ELNS1_3repE0EEENS1_30default_config_static_selectorELNS0_4arch9wavefront6targetE0EEEvSF_
    .private_segment_fixed_size: 0
    .sgpr_count:     30
    .sgpr_spill_count: 0
    .symbol:         _ZN7rocprim17ROCPRIM_400000_NS6detail17trampoline_kernelINS0_14default_configENS1_22reduce_config_selectorI11minmax_pairIiEEEZNS1_11reduce_implILb1ES3_PS6_S9_S6_16minmax_binary_opIiEEE10hipError_tPvRmT1_T2_T3_mT4_P12ihipStream_tbEUlT_E1_NS1_11comp_targetILNS1_3genE0ELNS1_11target_archE4294967295ELNS1_3gpuE0ELNS1_3repE0EEENS1_30default_config_static_selectorELNS0_4arch9wavefront6targetE0EEEvSF_.kd
    .uniform_work_group_size: 1
    .uses_dynamic_stack: false
    .vgpr_count:     34
    .vgpr_spill_count: 0
    .wavefront_size: 32
  - .args:
      - .offset:         0
        .size:           48
        .value_kind:     by_value
    .group_segment_fixed_size: 0
    .kernarg_segment_align: 8
    .kernarg_segment_size: 48
    .language:       OpenCL C
    .language_version:
      - 2
      - 0
    .max_flat_workgroup_size: 256
    .name:           _ZN7rocprim17ROCPRIM_400000_NS6detail17trampoline_kernelINS0_14default_configENS1_22reduce_config_selectorI11minmax_pairIiEEEZNS1_11reduce_implILb1ES3_PS6_S9_S6_16minmax_binary_opIiEEE10hipError_tPvRmT1_T2_T3_mT4_P12ihipStream_tbEUlT_E1_NS1_11comp_targetILNS1_3genE5ELNS1_11target_archE942ELNS1_3gpuE9ELNS1_3repE0EEENS1_30default_config_static_selectorELNS0_4arch9wavefront6targetE0EEEvSF_
    .private_segment_fixed_size: 0
    .sgpr_count:     0
    .sgpr_spill_count: 0
    .symbol:         _ZN7rocprim17ROCPRIM_400000_NS6detail17trampoline_kernelINS0_14default_configENS1_22reduce_config_selectorI11minmax_pairIiEEEZNS1_11reduce_implILb1ES3_PS6_S9_S6_16minmax_binary_opIiEEE10hipError_tPvRmT1_T2_T3_mT4_P12ihipStream_tbEUlT_E1_NS1_11comp_targetILNS1_3genE5ELNS1_11target_archE942ELNS1_3gpuE9ELNS1_3repE0EEENS1_30default_config_static_selectorELNS0_4arch9wavefront6targetE0EEEvSF_.kd
    .uniform_work_group_size: 1
    .uses_dynamic_stack: false
    .vgpr_count:     0
    .vgpr_spill_count: 0
    .wavefront_size: 32
  - .args:
      - .offset:         0
        .size:           48
        .value_kind:     by_value
    .group_segment_fixed_size: 0
    .kernarg_segment_align: 8
    .kernarg_segment_size: 48
    .language:       OpenCL C
    .language_version:
      - 2
      - 0
    .max_flat_workgroup_size: 256
    .name:           _ZN7rocprim17ROCPRIM_400000_NS6detail17trampoline_kernelINS0_14default_configENS1_22reduce_config_selectorI11minmax_pairIiEEEZNS1_11reduce_implILb1ES3_PS6_S9_S6_16minmax_binary_opIiEEE10hipError_tPvRmT1_T2_T3_mT4_P12ihipStream_tbEUlT_E1_NS1_11comp_targetILNS1_3genE4ELNS1_11target_archE910ELNS1_3gpuE8ELNS1_3repE0EEENS1_30default_config_static_selectorELNS0_4arch9wavefront6targetE0EEEvSF_
    .private_segment_fixed_size: 0
    .sgpr_count:     0
    .sgpr_spill_count: 0
    .symbol:         _ZN7rocprim17ROCPRIM_400000_NS6detail17trampoline_kernelINS0_14default_configENS1_22reduce_config_selectorI11minmax_pairIiEEEZNS1_11reduce_implILb1ES3_PS6_S9_S6_16minmax_binary_opIiEEE10hipError_tPvRmT1_T2_T3_mT4_P12ihipStream_tbEUlT_E1_NS1_11comp_targetILNS1_3genE4ELNS1_11target_archE910ELNS1_3gpuE8ELNS1_3repE0EEENS1_30default_config_static_selectorELNS0_4arch9wavefront6targetE0EEEvSF_.kd
    .uniform_work_group_size: 1
    .uses_dynamic_stack: false
    .vgpr_count:     0
    .vgpr_spill_count: 0
    .wavefront_size: 32
  - .args:
      - .offset:         0
        .size:           48
        .value_kind:     by_value
    .group_segment_fixed_size: 0
    .kernarg_segment_align: 8
    .kernarg_segment_size: 48
    .language:       OpenCL C
    .language_version:
      - 2
      - 0
    .max_flat_workgroup_size: 256
    .name:           _ZN7rocprim17ROCPRIM_400000_NS6detail17trampoline_kernelINS0_14default_configENS1_22reduce_config_selectorI11minmax_pairIiEEEZNS1_11reduce_implILb1ES3_PS6_S9_S6_16minmax_binary_opIiEEE10hipError_tPvRmT1_T2_T3_mT4_P12ihipStream_tbEUlT_E1_NS1_11comp_targetILNS1_3genE3ELNS1_11target_archE908ELNS1_3gpuE7ELNS1_3repE0EEENS1_30default_config_static_selectorELNS0_4arch9wavefront6targetE0EEEvSF_
    .private_segment_fixed_size: 0
    .sgpr_count:     0
    .sgpr_spill_count: 0
    .symbol:         _ZN7rocprim17ROCPRIM_400000_NS6detail17trampoline_kernelINS0_14default_configENS1_22reduce_config_selectorI11minmax_pairIiEEEZNS1_11reduce_implILb1ES3_PS6_S9_S6_16minmax_binary_opIiEEE10hipError_tPvRmT1_T2_T3_mT4_P12ihipStream_tbEUlT_E1_NS1_11comp_targetILNS1_3genE3ELNS1_11target_archE908ELNS1_3gpuE7ELNS1_3repE0EEENS1_30default_config_static_selectorELNS0_4arch9wavefront6targetE0EEEvSF_.kd
    .uniform_work_group_size: 1
    .uses_dynamic_stack: false
    .vgpr_count:     0
    .vgpr_spill_count: 0
    .wavefront_size: 32
  - .args:
      - .offset:         0
        .size:           48
        .value_kind:     by_value
    .group_segment_fixed_size: 0
    .kernarg_segment_align: 8
    .kernarg_segment_size: 48
    .language:       OpenCL C
    .language_version:
      - 2
      - 0
    .max_flat_workgroup_size: 256
    .name:           _ZN7rocprim17ROCPRIM_400000_NS6detail17trampoline_kernelINS0_14default_configENS1_22reduce_config_selectorI11minmax_pairIiEEEZNS1_11reduce_implILb1ES3_PS6_S9_S6_16minmax_binary_opIiEEE10hipError_tPvRmT1_T2_T3_mT4_P12ihipStream_tbEUlT_E1_NS1_11comp_targetILNS1_3genE2ELNS1_11target_archE906ELNS1_3gpuE6ELNS1_3repE0EEENS1_30default_config_static_selectorELNS0_4arch9wavefront6targetE0EEEvSF_
    .private_segment_fixed_size: 0
    .sgpr_count:     0
    .sgpr_spill_count: 0
    .symbol:         _ZN7rocprim17ROCPRIM_400000_NS6detail17trampoline_kernelINS0_14default_configENS1_22reduce_config_selectorI11minmax_pairIiEEEZNS1_11reduce_implILb1ES3_PS6_S9_S6_16minmax_binary_opIiEEE10hipError_tPvRmT1_T2_T3_mT4_P12ihipStream_tbEUlT_E1_NS1_11comp_targetILNS1_3genE2ELNS1_11target_archE906ELNS1_3gpuE6ELNS1_3repE0EEENS1_30default_config_static_selectorELNS0_4arch9wavefront6targetE0EEEvSF_.kd
    .uniform_work_group_size: 1
    .uses_dynamic_stack: false
    .vgpr_count:     0
    .vgpr_spill_count: 0
    .wavefront_size: 32
  - .args:
      - .offset:         0
        .size:           48
        .value_kind:     by_value
    .group_segment_fixed_size: 0
    .kernarg_segment_align: 8
    .kernarg_segment_size: 48
    .language:       OpenCL C
    .language_version:
      - 2
      - 0
    .max_flat_workgroup_size: 256
    .name:           _ZN7rocprim17ROCPRIM_400000_NS6detail17trampoline_kernelINS0_14default_configENS1_22reduce_config_selectorI11minmax_pairIiEEEZNS1_11reduce_implILb1ES3_PS6_S9_S6_16minmax_binary_opIiEEE10hipError_tPvRmT1_T2_T3_mT4_P12ihipStream_tbEUlT_E1_NS1_11comp_targetILNS1_3genE10ELNS1_11target_archE1201ELNS1_3gpuE5ELNS1_3repE0EEENS1_30default_config_static_selectorELNS0_4arch9wavefront6targetE0EEEvSF_
    .private_segment_fixed_size: 0
    .sgpr_count:     0
    .sgpr_spill_count: 0
    .symbol:         _ZN7rocprim17ROCPRIM_400000_NS6detail17trampoline_kernelINS0_14default_configENS1_22reduce_config_selectorI11minmax_pairIiEEEZNS1_11reduce_implILb1ES3_PS6_S9_S6_16minmax_binary_opIiEEE10hipError_tPvRmT1_T2_T3_mT4_P12ihipStream_tbEUlT_E1_NS1_11comp_targetILNS1_3genE10ELNS1_11target_archE1201ELNS1_3gpuE5ELNS1_3repE0EEENS1_30default_config_static_selectorELNS0_4arch9wavefront6targetE0EEEvSF_.kd
    .uniform_work_group_size: 1
    .uses_dynamic_stack: false
    .vgpr_count:     0
    .vgpr_spill_count: 0
    .wavefront_size: 32
  - .args:
      - .offset:         0
        .size:           48
        .value_kind:     by_value
    .group_segment_fixed_size: 0
    .kernarg_segment_align: 8
    .kernarg_segment_size: 48
    .language:       OpenCL C
    .language_version:
      - 2
      - 0
    .max_flat_workgroup_size: 256
    .name:           _ZN7rocprim17ROCPRIM_400000_NS6detail17trampoline_kernelINS0_14default_configENS1_22reduce_config_selectorI11minmax_pairIiEEEZNS1_11reduce_implILb1ES3_PS6_S9_S6_16minmax_binary_opIiEEE10hipError_tPvRmT1_T2_T3_mT4_P12ihipStream_tbEUlT_E1_NS1_11comp_targetILNS1_3genE10ELNS1_11target_archE1200ELNS1_3gpuE4ELNS1_3repE0EEENS1_30default_config_static_selectorELNS0_4arch9wavefront6targetE0EEEvSF_
    .private_segment_fixed_size: 0
    .sgpr_count:     0
    .sgpr_spill_count: 0
    .symbol:         _ZN7rocprim17ROCPRIM_400000_NS6detail17trampoline_kernelINS0_14default_configENS1_22reduce_config_selectorI11minmax_pairIiEEEZNS1_11reduce_implILb1ES3_PS6_S9_S6_16minmax_binary_opIiEEE10hipError_tPvRmT1_T2_T3_mT4_P12ihipStream_tbEUlT_E1_NS1_11comp_targetILNS1_3genE10ELNS1_11target_archE1200ELNS1_3gpuE4ELNS1_3repE0EEENS1_30default_config_static_selectorELNS0_4arch9wavefront6targetE0EEEvSF_.kd
    .uniform_work_group_size: 1
    .uses_dynamic_stack: false
    .vgpr_count:     0
    .vgpr_spill_count: 0
    .wavefront_size: 32
  - .args:
      - .offset:         0
        .size:           48
        .value_kind:     by_value
    .group_segment_fixed_size: 0
    .kernarg_segment_align: 8
    .kernarg_segment_size: 48
    .language:       OpenCL C
    .language_version:
      - 2
      - 0
    .max_flat_workgroup_size: 256
    .name:           _ZN7rocprim17ROCPRIM_400000_NS6detail17trampoline_kernelINS0_14default_configENS1_22reduce_config_selectorI11minmax_pairIiEEEZNS1_11reduce_implILb1ES3_PS6_S9_S6_16minmax_binary_opIiEEE10hipError_tPvRmT1_T2_T3_mT4_P12ihipStream_tbEUlT_E1_NS1_11comp_targetILNS1_3genE9ELNS1_11target_archE1100ELNS1_3gpuE3ELNS1_3repE0EEENS1_30default_config_static_selectorELNS0_4arch9wavefront6targetE0EEEvSF_
    .private_segment_fixed_size: 0
    .sgpr_count:     0
    .sgpr_spill_count: 0
    .symbol:         _ZN7rocprim17ROCPRIM_400000_NS6detail17trampoline_kernelINS0_14default_configENS1_22reduce_config_selectorI11minmax_pairIiEEEZNS1_11reduce_implILb1ES3_PS6_S9_S6_16minmax_binary_opIiEEE10hipError_tPvRmT1_T2_T3_mT4_P12ihipStream_tbEUlT_E1_NS1_11comp_targetILNS1_3genE9ELNS1_11target_archE1100ELNS1_3gpuE3ELNS1_3repE0EEENS1_30default_config_static_selectorELNS0_4arch9wavefront6targetE0EEEvSF_.kd
    .uniform_work_group_size: 1
    .uses_dynamic_stack: false
    .vgpr_count:     0
    .vgpr_spill_count: 0
    .wavefront_size: 32
  - .args:
      - .offset:         0
        .size:           48
        .value_kind:     by_value
    .group_segment_fixed_size: 0
    .kernarg_segment_align: 8
    .kernarg_segment_size: 48
    .language:       OpenCL C
    .language_version:
      - 2
      - 0
    .max_flat_workgroup_size: 256
    .name:           _ZN7rocprim17ROCPRIM_400000_NS6detail17trampoline_kernelINS0_14default_configENS1_22reduce_config_selectorI11minmax_pairIiEEEZNS1_11reduce_implILb1ES3_PS6_S9_S6_16minmax_binary_opIiEEE10hipError_tPvRmT1_T2_T3_mT4_P12ihipStream_tbEUlT_E1_NS1_11comp_targetILNS1_3genE8ELNS1_11target_archE1030ELNS1_3gpuE2ELNS1_3repE0EEENS1_30default_config_static_selectorELNS0_4arch9wavefront6targetE0EEEvSF_
    .private_segment_fixed_size: 0
    .sgpr_count:     0
    .sgpr_spill_count: 0
    .symbol:         _ZN7rocprim17ROCPRIM_400000_NS6detail17trampoline_kernelINS0_14default_configENS1_22reduce_config_selectorI11minmax_pairIiEEEZNS1_11reduce_implILb1ES3_PS6_S9_S6_16minmax_binary_opIiEEE10hipError_tPvRmT1_T2_T3_mT4_P12ihipStream_tbEUlT_E1_NS1_11comp_targetILNS1_3genE8ELNS1_11target_archE1030ELNS1_3gpuE2ELNS1_3repE0EEENS1_30default_config_static_selectorELNS0_4arch9wavefront6targetE0EEEvSF_.kd
    .uniform_work_group_size: 1
    .uses_dynamic_stack: false
    .vgpr_count:     0
    .vgpr_spill_count: 0
    .wavefront_size: 32
  - .args:
      - .offset:         0
        .size:           72
        .value_kind:     by_value
    .group_segment_fixed_size: 128
    .kernarg_segment_align: 8
    .kernarg_segment_size: 72
    .language:       OpenCL C
    .language_version:
      - 2
      - 0
    .max_flat_workgroup_size: 256
    .name:           _ZN7rocprim17ROCPRIM_400000_NS6detail17trampoline_kernelINS0_14default_configENS1_22reduce_config_selectorI11minmax_pairIiEEEZNS1_11reduce_implILb1ES3_N6thrust23THRUST_200600_302600_NS11hip_rocprim26transform_input_iterator_tIS6_NSA_6detail15normal_iteratorINSA_10device_ptrIiEEEE15minmax_unary_opIiEEEPS6_S6_16minmax_binary_opIiEEE10hipError_tPvRmT1_T2_T3_mT4_P12ihipStream_tbEUlT_E0_NS1_11comp_targetILNS1_3genE0ELNS1_11target_archE4294967295ELNS1_3gpuE0ELNS1_3repE0EEENS1_30default_config_static_selectorELNS0_4arch9wavefront6targetE0EEEvSR_
    .private_segment_fixed_size: 0
    .sgpr_count:     32
    .sgpr_spill_count: 0
    .symbol:         _ZN7rocprim17ROCPRIM_400000_NS6detail17trampoline_kernelINS0_14default_configENS1_22reduce_config_selectorI11minmax_pairIiEEEZNS1_11reduce_implILb1ES3_N6thrust23THRUST_200600_302600_NS11hip_rocprim26transform_input_iterator_tIS6_NSA_6detail15normal_iteratorINSA_10device_ptrIiEEEE15minmax_unary_opIiEEEPS6_S6_16minmax_binary_opIiEEE10hipError_tPvRmT1_T2_T3_mT4_P12ihipStream_tbEUlT_E0_NS1_11comp_targetILNS1_3genE0ELNS1_11target_archE4294967295ELNS1_3gpuE0ELNS1_3repE0EEENS1_30default_config_static_selectorELNS0_4arch9wavefront6targetE0EEEvSR_.kd
    .uniform_work_group_size: 1
    .uses_dynamic_stack: false
    .vgpr_count:     20
    .vgpr_spill_count: 0
    .wavefront_size: 32
  - .args:
      - .offset:         0
        .size:           72
        .value_kind:     by_value
    .group_segment_fixed_size: 0
    .kernarg_segment_align: 8
    .kernarg_segment_size: 72
    .language:       OpenCL C
    .language_version:
      - 2
      - 0
    .max_flat_workgroup_size: 256
    .name:           _ZN7rocprim17ROCPRIM_400000_NS6detail17trampoline_kernelINS0_14default_configENS1_22reduce_config_selectorI11minmax_pairIiEEEZNS1_11reduce_implILb1ES3_N6thrust23THRUST_200600_302600_NS11hip_rocprim26transform_input_iterator_tIS6_NSA_6detail15normal_iteratorINSA_10device_ptrIiEEEE15minmax_unary_opIiEEEPS6_S6_16minmax_binary_opIiEEE10hipError_tPvRmT1_T2_T3_mT4_P12ihipStream_tbEUlT_E0_NS1_11comp_targetILNS1_3genE5ELNS1_11target_archE942ELNS1_3gpuE9ELNS1_3repE0EEENS1_30default_config_static_selectorELNS0_4arch9wavefront6targetE0EEEvSR_
    .private_segment_fixed_size: 0
    .sgpr_count:     0
    .sgpr_spill_count: 0
    .symbol:         _ZN7rocprim17ROCPRIM_400000_NS6detail17trampoline_kernelINS0_14default_configENS1_22reduce_config_selectorI11minmax_pairIiEEEZNS1_11reduce_implILb1ES3_N6thrust23THRUST_200600_302600_NS11hip_rocprim26transform_input_iterator_tIS6_NSA_6detail15normal_iteratorINSA_10device_ptrIiEEEE15minmax_unary_opIiEEEPS6_S6_16minmax_binary_opIiEEE10hipError_tPvRmT1_T2_T3_mT4_P12ihipStream_tbEUlT_E0_NS1_11comp_targetILNS1_3genE5ELNS1_11target_archE942ELNS1_3gpuE9ELNS1_3repE0EEENS1_30default_config_static_selectorELNS0_4arch9wavefront6targetE0EEEvSR_.kd
    .uniform_work_group_size: 1
    .uses_dynamic_stack: false
    .vgpr_count:     0
    .vgpr_spill_count: 0
    .wavefront_size: 32
  - .args:
      - .offset:         0
        .size:           72
        .value_kind:     by_value
    .group_segment_fixed_size: 0
    .kernarg_segment_align: 8
    .kernarg_segment_size: 72
    .language:       OpenCL C
    .language_version:
      - 2
      - 0
    .max_flat_workgroup_size: 256
    .name:           _ZN7rocprim17ROCPRIM_400000_NS6detail17trampoline_kernelINS0_14default_configENS1_22reduce_config_selectorI11minmax_pairIiEEEZNS1_11reduce_implILb1ES3_N6thrust23THRUST_200600_302600_NS11hip_rocprim26transform_input_iterator_tIS6_NSA_6detail15normal_iteratorINSA_10device_ptrIiEEEE15minmax_unary_opIiEEEPS6_S6_16minmax_binary_opIiEEE10hipError_tPvRmT1_T2_T3_mT4_P12ihipStream_tbEUlT_E0_NS1_11comp_targetILNS1_3genE4ELNS1_11target_archE910ELNS1_3gpuE8ELNS1_3repE0EEENS1_30default_config_static_selectorELNS0_4arch9wavefront6targetE0EEEvSR_
    .private_segment_fixed_size: 0
    .sgpr_count:     0
    .sgpr_spill_count: 0
    .symbol:         _ZN7rocprim17ROCPRIM_400000_NS6detail17trampoline_kernelINS0_14default_configENS1_22reduce_config_selectorI11minmax_pairIiEEEZNS1_11reduce_implILb1ES3_N6thrust23THRUST_200600_302600_NS11hip_rocprim26transform_input_iterator_tIS6_NSA_6detail15normal_iteratorINSA_10device_ptrIiEEEE15minmax_unary_opIiEEEPS6_S6_16minmax_binary_opIiEEE10hipError_tPvRmT1_T2_T3_mT4_P12ihipStream_tbEUlT_E0_NS1_11comp_targetILNS1_3genE4ELNS1_11target_archE910ELNS1_3gpuE8ELNS1_3repE0EEENS1_30default_config_static_selectorELNS0_4arch9wavefront6targetE0EEEvSR_.kd
    .uniform_work_group_size: 1
    .uses_dynamic_stack: false
    .vgpr_count:     0
    .vgpr_spill_count: 0
    .wavefront_size: 32
  - .args:
      - .offset:         0
        .size:           72
        .value_kind:     by_value
    .group_segment_fixed_size: 0
    .kernarg_segment_align: 8
    .kernarg_segment_size: 72
    .language:       OpenCL C
    .language_version:
      - 2
      - 0
    .max_flat_workgroup_size: 256
    .name:           _ZN7rocprim17ROCPRIM_400000_NS6detail17trampoline_kernelINS0_14default_configENS1_22reduce_config_selectorI11minmax_pairIiEEEZNS1_11reduce_implILb1ES3_N6thrust23THRUST_200600_302600_NS11hip_rocprim26transform_input_iterator_tIS6_NSA_6detail15normal_iteratorINSA_10device_ptrIiEEEE15minmax_unary_opIiEEEPS6_S6_16minmax_binary_opIiEEE10hipError_tPvRmT1_T2_T3_mT4_P12ihipStream_tbEUlT_E0_NS1_11comp_targetILNS1_3genE3ELNS1_11target_archE908ELNS1_3gpuE7ELNS1_3repE0EEENS1_30default_config_static_selectorELNS0_4arch9wavefront6targetE0EEEvSR_
    .private_segment_fixed_size: 0
    .sgpr_count:     0
    .sgpr_spill_count: 0
    .symbol:         _ZN7rocprim17ROCPRIM_400000_NS6detail17trampoline_kernelINS0_14default_configENS1_22reduce_config_selectorI11minmax_pairIiEEEZNS1_11reduce_implILb1ES3_N6thrust23THRUST_200600_302600_NS11hip_rocprim26transform_input_iterator_tIS6_NSA_6detail15normal_iteratorINSA_10device_ptrIiEEEE15minmax_unary_opIiEEEPS6_S6_16minmax_binary_opIiEEE10hipError_tPvRmT1_T2_T3_mT4_P12ihipStream_tbEUlT_E0_NS1_11comp_targetILNS1_3genE3ELNS1_11target_archE908ELNS1_3gpuE7ELNS1_3repE0EEENS1_30default_config_static_selectorELNS0_4arch9wavefront6targetE0EEEvSR_.kd
    .uniform_work_group_size: 1
    .uses_dynamic_stack: false
    .vgpr_count:     0
    .vgpr_spill_count: 0
    .wavefront_size: 32
  - .args:
      - .offset:         0
        .size:           72
        .value_kind:     by_value
    .group_segment_fixed_size: 0
    .kernarg_segment_align: 8
    .kernarg_segment_size: 72
    .language:       OpenCL C
    .language_version:
      - 2
      - 0
    .max_flat_workgroup_size: 256
    .name:           _ZN7rocprim17ROCPRIM_400000_NS6detail17trampoline_kernelINS0_14default_configENS1_22reduce_config_selectorI11minmax_pairIiEEEZNS1_11reduce_implILb1ES3_N6thrust23THRUST_200600_302600_NS11hip_rocprim26transform_input_iterator_tIS6_NSA_6detail15normal_iteratorINSA_10device_ptrIiEEEE15minmax_unary_opIiEEEPS6_S6_16minmax_binary_opIiEEE10hipError_tPvRmT1_T2_T3_mT4_P12ihipStream_tbEUlT_E0_NS1_11comp_targetILNS1_3genE2ELNS1_11target_archE906ELNS1_3gpuE6ELNS1_3repE0EEENS1_30default_config_static_selectorELNS0_4arch9wavefront6targetE0EEEvSR_
    .private_segment_fixed_size: 0
    .sgpr_count:     0
    .sgpr_spill_count: 0
    .symbol:         _ZN7rocprim17ROCPRIM_400000_NS6detail17trampoline_kernelINS0_14default_configENS1_22reduce_config_selectorI11minmax_pairIiEEEZNS1_11reduce_implILb1ES3_N6thrust23THRUST_200600_302600_NS11hip_rocprim26transform_input_iterator_tIS6_NSA_6detail15normal_iteratorINSA_10device_ptrIiEEEE15minmax_unary_opIiEEEPS6_S6_16minmax_binary_opIiEEE10hipError_tPvRmT1_T2_T3_mT4_P12ihipStream_tbEUlT_E0_NS1_11comp_targetILNS1_3genE2ELNS1_11target_archE906ELNS1_3gpuE6ELNS1_3repE0EEENS1_30default_config_static_selectorELNS0_4arch9wavefront6targetE0EEEvSR_.kd
    .uniform_work_group_size: 1
    .uses_dynamic_stack: false
    .vgpr_count:     0
    .vgpr_spill_count: 0
    .wavefront_size: 32
  - .args:
      - .offset:         0
        .size:           72
        .value_kind:     by_value
    .group_segment_fixed_size: 0
    .kernarg_segment_align: 8
    .kernarg_segment_size: 72
    .language:       OpenCL C
    .language_version:
      - 2
      - 0
    .max_flat_workgroup_size: 256
    .name:           _ZN7rocprim17ROCPRIM_400000_NS6detail17trampoline_kernelINS0_14default_configENS1_22reduce_config_selectorI11minmax_pairIiEEEZNS1_11reduce_implILb1ES3_N6thrust23THRUST_200600_302600_NS11hip_rocprim26transform_input_iterator_tIS6_NSA_6detail15normal_iteratorINSA_10device_ptrIiEEEE15minmax_unary_opIiEEEPS6_S6_16minmax_binary_opIiEEE10hipError_tPvRmT1_T2_T3_mT4_P12ihipStream_tbEUlT_E0_NS1_11comp_targetILNS1_3genE10ELNS1_11target_archE1201ELNS1_3gpuE5ELNS1_3repE0EEENS1_30default_config_static_selectorELNS0_4arch9wavefront6targetE0EEEvSR_
    .private_segment_fixed_size: 0
    .sgpr_count:     0
    .sgpr_spill_count: 0
    .symbol:         _ZN7rocprim17ROCPRIM_400000_NS6detail17trampoline_kernelINS0_14default_configENS1_22reduce_config_selectorI11minmax_pairIiEEEZNS1_11reduce_implILb1ES3_N6thrust23THRUST_200600_302600_NS11hip_rocprim26transform_input_iterator_tIS6_NSA_6detail15normal_iteratorINSA_10device_ptrIiEEEE15minmax_unary_opIiEEEPS6_S6_16minmax_binary_opIiEEE10hipError_tPvRmT1_T2_T3_mT4_P12ihipStream_tbEUlT_E0_NS1_11comp_targetILNS1_3genE10ELNS1_11target_archE1201ELNS1_3gpuE5ELNS1_3repE0EEENS1_30default_config_static_selectorELNS0_4arch9wavefront6targetE0EEEvSR_.kd
    .uniform_work_group_size: 1
    .uses_dynamic_stack: false
    .vgpr_count:     0
    .vgpr_spill_count: 0
    .wavefront_size: 32
  - .args:
      - .offset:         0
        .size:           72
        .value_kind:     by_value
    .group_segment_fixed_size: 0
    .kernarg_segment_align: 8
    .kernarg_segment_size: 72
    .language:       OpenCL C
    .language_version:
      - 2
      - 0
    .max_flat_workgroup_size: 256
    .name:           _ZN7rocprim17ROCPRIM_400000_NS6detail17trampoline_kernelINS0_14default_configENS1_22reduce_config_selectorI11minmax_pairIiEEEZNS1_11reduce_implILb1ES3_N6thrust23THRUST_200600_302600_NS11hip_rocprim26transform_input_iterator_tIS6_NSA_6detail15normal_iteratorINSA_10device_ptrIiEEEE15minmax_unary_opIiEEEPS6_S6_16minmax_binary_opIiEEE10hipError_tPvRmT1_T2_T3_mT4_P12ihipStream_tbEUlT_E0_NS1_11comp_targetILNS1_3genE10ELNS1_11target_archE1200ELNS1_3gpuE4ELNS1_3repE0EEENS1_30default_config_static_selectorELNS0_4arch9wavefront6targetE0EEEvSR_
    .private_segment_fixed_size: 0
    .sgpr_count:     0
    .sgpr_spill_count: 0
    .symbol:         _ZN7rocprim17ROCPRIM_400000_NS6detail17trampoline_kernelINS0_14default_configENS1_22reduce_config_selectorI11minmax_pairIiEEEZNS1_11reduce_implILb1ES3_N6thrust23THRUST_200600_302600_NS11hip_rocprim26transform_input_iterator_tIS6_NSA_6detail15normal_iteratorINSA_10device_ptrIiEEEE15minmax_unary_opIiEEEPS6_S6_16minmax_binary_opIiEEE10hipError_tPvRmT1_T2_T3_mT4_P12ihipStream_tbEUlT_E0_NS1_11comp_targetILNS1_3genE10ELNS1_11target_archE1200ELNS1_3gpuE4ELNS1_3repE0EEENS1_30default_config_static_selectorELNS0_4arch9wavefront6targetE0EEEvSR_.kd
    .uniform_work_group_size: 1
    .uses_dynamic_stack: false
    .vgpr_count:     0
    .vgpr_spill_count: 0
    .wavefront_size: 32
  - .args:
      - .offset:         0
        .size:           72
        .value_kind:     by_value
    .group_segment_fixed_size: 0
    .kernarg_segment_align: 8
    .kernarg_segment_size: 72
    .language:       OpenCL C
    .language_version:
      - 2
      - 0
    .max_flat_workgroup_size: 256
    .name:           _ZN7rocprim17ROCPRIM_400000_NS6detail17trampoline_kernelINS0_14default_configENS1_22reduce_config_selectorI11minmax_pairIiEEEZNS1_11reduce_implILb1ES3_N6thrust23THRUST_200600_302600_NS11hip_rocprim26transform_input_iterator_tIS6_NSA_6detail15normal_iteratorINSA_10device_ptrIiEEEE15minmax_unary_opIiEEEPS6_S6_16minmax_binary_opIiEEE10hipError_tPvRmT1_T2_T3_mT4_P12ihipStream_tbEUlT_E0_NS1_11comp_targetILNS1_3genE9ELNS1_11target_archE1100ELNS1_3gpuE3ELNS1_3repE0EEENS1_30default_config_static_selectorELNS0_4arch9wavefront6targetE0EEEvSR_
    .private_segment_fixed_size: 0
    .sgpr_count:     0
    .sgpr_spill_count: 0
    .symbol:         _ZN7rocprim17ROCPRIM_400000_NS6detail17trampoline_kernelINS0_14default_configENS1_22reduce_config_selectorI11minmax_pairIiEEEZNS1_11reduce_implILb1ES3_N6thrust23THRUST_200600_302600_NS11hip_rocprim26transform_input_iterator_tIS6_NSA_6detail15normal_iteratorINSA_10device_ptrIiEEEE15minmax_unary_opIiEEEPS6_S6_16minmax_binary_opIiEEE10hipError_tPvRmT1_T2_T3_mT4_P12ihipStream_tbEUlT_E0_NS1_11comp_targetILNS1_3genE9ELNS1_11target_archE1100ELNS1_3gpuE3ELNS1_3repE0EEENS1_30default_config_static_selectorELNS0_4arch9wavefront6targetE0EEEvSR_.kd
    .uniform_work_group_size: 1
    .uses_dynamic_stack: false
    .vgpr_count:     0
    .vgpr_spill_count: 0
    .wavefront_size: 32
  - .args:
      - .offset:         0
        .size:           72
        .value_kind:     by_value
    .group_segment_fixed_size: 0
    .kernarg_segment_align: 8
    .kernarg_segment_size: 72
    .language:       OpenCL C
    .language_version:
      - 2
      - 0
    .max_flat_workgroup_size: 256
    .name:           _ZN7rocprim17ROCPRIM_400000_NS6detail17trampoline_kernelINS0_14default_configENS1_22reduce_config_selectorI11minmax_pairIiEEEZNS1_11reduce_implILb1ES3_N6thrust23THRUST_200600_302600_NS11hip_rocprim26transform_input_iterator_tIS6_NSA_6detail15normal_iteratorINSA_10device_ptrIiEEEE15minmax_unary_opIiEEEPS6_S6_16minmax_binary_opIiEEE10hipError_tPvRmT1_T2_T3_mT4_P12ihipStream_tbEUlT_E0_NS1_11comp_targetILNS1_3genE8ELNS1_11target_archE1030ELNS1_3gpuE2ELNS1_3repE0EEENS1_30default_config_static_selectorELNS0_4arch9wavefront6targetE0EEEvSR_
    .private_segment_fixed_size: 0
    .sgpr_count:     0
    .sgpr_spill_count: 0
    .symbol:         _ZN7rocprim17ROCPRIM_400000_NS6detail17trampoline_kernelINS0_14default_configENS1_22reduce_config_selectorI11minmax_pairIiEEEZNS1_11reduce_implILb1ES3_N6thrust23THRUST_200600_302600_NS11hip_rocprim26transform_input_iterator_tIS6_NSA_6detail15normal_iteratorINSA_10device_ptrIiEEEE15minmax_unary_opIiEEEPS6_S6_16minmax_binary_opIiEEE10hipError_tPvRmT1_T2_T3_mT4_P12ihipStream_tbEUlT_E0_NS1_11comp_targetILNS1_3genE8ELNS1_11target_archE1030ELNS1_3gpuE2ELNS1_3repE0EEENS1_30default_config_static_selectorELNS0_4arch9wavefront6targetE0EEEvSR_.kd
    .uniform_work_group_size: 1
    .uses_dynamic_stack: false
    .vgpr_count:     0
    .vgpr_spill_count: 0
    .wavefront_size: 32
  - .args:
      - .offset:         0
        .size:           56
        .value_kind:     by_value
    .group_segment_fixed_size: 384
    .kernarg_segment_align: 8
    .kernarg_segment_size: 56
    .language:       OpenCL C
    .language_version:
      - 2
      - 0
    .max_flat_workgroup_size: 256
    .name:           _ZN7rocprim17ROCPRIM_400000_NS6detail17trampoline_kernelINS0_14default_configENS1_22reduce_config_selectorI11minmax_pairIiEEEZNS1_11reduce_implILb1ES3_N6thrust23THRUST_200600_302600_NS11hip_rocprim26transform_input_iterator_tIS6_NSA_6detail15normal_iteratorINSA_10device_ptrIiEEEE15minmax_unary_opIiEEEPS6_S6_16minmax_binary_opIiEEE10hipError_tPvRmT1_T2_T3_mT4_P12ihipStream_tbEUlT_E1_NS1_11comp_targetILNS1_3genE0ELNS1_11target_archE4294967295ELNS1_3gpuE0ELNS1_3repE0EEENS1_30default_config_static_selectorELNS0_4arch9wavefront6targetE0EEEvSR_
    .private_segment_fixed_size: 0
    .sgpr_count:     32
    .sgpr_spill_count: 0
    .symbol:         _ZN7rocprim17ROCPRIM_400000_NS6detail17trampoline_kernelINS0_14default_configENS1_22reduce_config_selectorI11minmax_pairIiEEEZNS1_11reduce_implILb1ES3_N6thrust23THRUST_200600_302600_NS11hip_rocprim26transform_input_iterator_tIS6_NSA_6detail15normal_iteratorINSA_10device_ptrIiEEEE15minmax_unary_opIiEEEPS6_S6_16minmax_binary_opIiEEE10hipError_tPvRmT1_T2_T3_mT4_P12ihipStream_tbEUlT_E1_NS1_11comp_targetILNS1_3genE0ELNS1_11target_archE4294967295ELNS1_3gpuE0ELNS1_3repE0EEENS1_30default_config_static_selectorELNS0_4arch9wavefront6targetE0EEEvSR_.kd
    .uniform_work_group_size: 1
    .uses_dynamic_stack: false
    .vgpr_count:     19
    .vgpr_spill_count: 0
    .wavefront_size: 32
  - .args:
      - .offset:         0
        .size:           56
        .value_kind:     by_value
    .group_segment_fixed_size: 0
    .kernarg_segment_align: 8
    .kernarg_segment_size: 56
    .language:       OpenCL C
    .language_version:
      - 2
      - 0
    .max_flat_workgroup_size: 256
    .name:           _ZN7rocprim17ROCPRIM_400000_NS6detail17trampoline_kernelINS0_14default_configENS1_22reduce_config_selectorI11minmax_pairIiEEEZNS1_11reduce_implILb1ES3_N6thrust23THRUST_200600_302600_NS11hip_rocprim26transform_input_iterator_tIS6_NSA_6detail15normal_iteratorINSA_10device_ptrIiEEEE15minmax_unary_opIiEEEPS6_S6_16minmax_binary_opIiEEE10hipError_tPvRmT1_T2_T3_mT4_P12ihipStream_tbEUlT_E1_NS1_11comp_targetILNS1_3genE5ELNS1_11target_archE942ELNS1_3gpuE9ELNS1_3repE0EEENS1_30default_config_static_selectorELNS0_4arch9wavefront6targetE0EEEvSR_
    .private_segment_fixed_size: 0
    .sgpr_count:     0
    .sgpr_spill_count: 0
    .symbol:         _ZN7rocprim17ROCPRIM_400000_NS6detail17trampoline_kernelINS0_14default_configENS1_22reduce_config_selectorI11minmax_pairIiEEEZNS1_11reduce_implILb1ES3_N6thrust23THRUST_200600_302600_NS11hip_rocprim26transform_input_iterator_tIS6_NSA_6detail15normal_iteratorINSA_10device_ptrIiEEEE15minmax_unary_opIiEEEPS6_S6_16minmax_binary_opIiEEE10hipError_tPvRmT1_T2_T3_mT4_P12ihipStream_tbEUlT_E1_NS1_11comp_targetILNS1_3genE5ELNS1_11target_archE942ELNS1_3gpuE9ELNS1_3repE0EEENS1_30default_config_static_selectorELNS0_4arch9wavefront6targetE0EEEvSR_.kd
    .uniform_work_group_size: 1
    .uses_dynamic_stack: false
    .vgpr_count:     0
    .vgpr_spill_count: 0
    .wavefront_size: 32
  - .args:
      - .offset:         0
        .size:           56
        .value_kind:     by_value
    .group_segment_fixed_size: 0
    .kernarg_segment_align: 8
    .kernarg_segment_size: 56
    .language:       OpenCL C
    .language_version:
      - 2
      - 0
    .max_flat_workgroup_size: 256
    .name:           _ZN7rocprim17ROCPRIM_400000_NS6detail17trampoline_kernelINS0_14default_configENS1_22reduce_config_selectorI11minmax_pairIiEEEZNS1_11reduce_implILb1ES3_N6thrust23THRUST_200600_302600_NS11hip_rocprim26transform_input_iterator_tIS6_NSA_6detail15normal_iteratorINSA_10device_ptrIiEEEE15minmax_unary_opIiEEEPS6_S6_16minmax_binary_opIiEEE10hipError_tPvRmT1_T2_T3_mT4_P12ihipStream_tbEUlT_E1_NS1_11comp_targetILNS1_3genE4ELNS1_11target_archE910ELNS1_3gpuE8ELNS1_3repE0EEENS1_30default_config_static_selectorELNS0_4arch9wavefront6targetE0EEEvSR_
    .private_segment_fixed_size: 0
    .sgpr_count:     0
    .sgpr_spill_count: 0
    .symbol:         _ZN7rocprim17ROCPRIM_400000_NS6detail17trampoline_kernelINS0_14default_configENS1_22reduce_config_selectorI11minmax_pairIiEEEZNS1_11reduce_implILb1ES3_N6thrust23THRUST_200600_302600_NS11hip_rocprim26transform_input_iterator_tIS6_NSA_6detail15normal_iteratorINSA_10device_ptrIiEEEE15minmax_unary_opIiEEEPS6_S6_16minmax_binary_opIiEEE10hipError_tPvRmT1_T2_T3_mT4_P12ihipStream_tbEUlT_E1_NS1_11comp_targetILNS1_3genE4ELNS1_11target_archE910ELNS1_3gpuE8ELNS1_3repE0EEENS1_30default_config_static_selectorELNS0_4arch9wavefront6targetE0EEEvSR_.kd
    .uniform_work_group_size: 1
    .uses_dynamic_stack: false
    .vgpr_count:     0
    .vgpr_spill_count: 0
    .wavefront_size: 32
  - .args:
      - .offset:         0
        .size:           56
        .value_kind:     by_value
    .group_segment_fixed_size: 0
    .kernarg_segment_align: 8
    .kernarg_segment_size: 56
    .language:       OpenCL C
    .language_version:
      - 2
      - 0
    .max_flat_workgroup_size: 256
    .name:           _ZN7rocprim17ROCPRIM_400000_NS6detail17trampoline_kernelINS0_14default_configENS1_22reduce_config_selectorI11minmax_pairIiEEEZNS1_11reduce_implILb1ES3_N6thrust23THRUST_200600_302600_NS11hip_rocprim26transform_input_iterator_tIS6_NSA_6detail15normal_iteratorINSA_10device_ptrIiEEEE15minmax_unary_opIiEEEPS6_S6_16minmax_binary_opIiEEE10hipError_tPvRmT1_T2_T3_mT4_P12ihipStream_tbEUlT_E1_NS1_11comp_targetILNS1_3genE3ELNS1_11target_archE908ELNS1_3gpuE7ELNS1_3repE0EEENS1_30default_config_static_selectorELNS0_4arch9wavefront6targetE0EEEvSR_
    .private_segment_fixed_size: 0
    .sgpr_count:     0
    .sgpr_spill_count: 0
    .symbol:         _ZN7rocprim17ROCPRIM_400000_NS6detail17trampoline_kernelINS0_14default_configENS1_22reduce_config_selectorI11minmax_pairIiEEEZNS1_11reduce_implILb1ES3_N6thrust23THRUST_200600_302600_NS11hip_rocprim26transform_input_iterator_tIS6_NSA_6detail15normal_iteratorINSA_10device_ptrIiEEEE15minmax_unary_opIiEEEPS6_S6_16minmax_binary_opIiEEE10hipError_tPvRmT1_T2_T3_mT4_P12ihipStream_tbEUlT_E1_NS1_11comp_targetILNS1_3genE3ELNS1_11target_archE908ELNS1_3gpuE7ELNS1_3repE0EEENS1_30default_config_static_selectorELNS0_4arch9wavefront6targetE0EEEvSR_.kd
    .uniform_work_group_size: 1
    .uses_dynamic_stack: false
    .vgpr_count:     0
    .vgpr_spill_count: 0
    .wavefront_size: 32
  - .args:
      - .offset:         0
        .size:           56
        .value_kind:     by_value
    .group_segment_fixed_size: 0
    .kernarg_segment_align: 8
    .kernarg_segment_size: 56
    .language:       OpenCL C
    .language_version:
      - 2
      - 0
    .max_flat_workgroup_size: 256
    .name:           _ZN7rocprim17ROCPRIM_400000_NS6detail17trampoline_kernelINS0_14default_configENS1_22reduce_config_selectorI11minmax_pairIiEEEZNS1_11reduce_implILb1ES3_N6thrust23THRUST_200600_302600_NS11hip_rocprim26transform_input_iterator_tIS6_NSA_6detail15normal_iteratorINSA_10device_ptrIiEEEE15minmax_unary_opIiEEEPS6_S6_16minmax_binary_opIiEEE10hipError_tPvRmT1_T2_T3_mT4_P12ihipStream_tbEUlT_E1_NS1_11comp_targetILNS1_3genE2ELNS1_11target_archE906ELNS1_3gpuE6ELNS1_3repE0EEENS1_30default_config_static_selectorELNS0_4arch9wavefront6targetE0EEEvSR_
    .private_segment_fixed_size: 0
    .sgpr_count:     0
    .sgpr_spill_count: 0
    .symbol:         _ZN7rocprim17ROCPRIM_400000_NS6detail17trampoline_kernelINS0_14default_configENS1_22reduce_config_selectorI11minmax_pairIiEEEZNS1_11reduce_implILb1ES3_N6thrust23THRUST_200600_302600_NS11hip_rocprim26transform_input_iterator_tIS6_NSA_6detail15normal_iteratorINSA_10device_ptrIiEEEE15minmax_unary_opIiEEEPS6_S6_16minmax_binary_opIiEEE10hipError_tPvRmT1_T2_T3_mT4_P12ihipStream_tbEUlT_E1_NS1_11comp_targetILNS1_3genE2ELNS1_11target_archE906ELNS1_3gpuE6ELNS1_3repE0EEENS1_30default_config_static_selectorELNS0_4arch9wavefront6targetE0EEEvSR_.kd
    .uniform_work_group_size: 1
    .uses_dynamic_stack: false
    .vgpr_count:     0
    .vgpr_spill_count: 0
    .wavefront_size: 32
  - .args:
      - .offset:         0
        .size:           56
        .value_kind:     by_value
    .group_segment_fixed_size: 0
    .kernarg_segment_align: 8
    .kernarg_segment_size: 56
    .language:       OpenCL C
    .language_version:
      - 2
      - 0
    .max_flat_workgroup_size: 256
    .name:           _ZN7rocprim17ROCPRIM_400000_NS6detail17trampoline_kernelINS0_14default_configENS1_22reduce_config_selectorI11minmax_pairIiEEEZNS1_11reduce_implILb1ES3_N6thrust23THRUST_200600_302600_NS11hip_rocprim26transform_input_iterator_tIS6_NSA_6detail15normal_iteratorINSA_10device_ptrIiEEEE15minmax_unary_opIiEEEPS6_S6_16minmax_binary_opIiEEE10hipError_tPvRmT1_T2_T3_mT4_P12ihipStream_tbEUlT_E1_NS1_11comp_targetILNS1_3genE10ELNS1_11target_archE1201ELNS1_3gpuE5ELNS1_3repE0EEENS1_30default_config_static_selectorELNS0_4arch9wavefront6targetE0EEEvSR_
    .private_segment_fixed_size: 0
    .sgpr_count:     0
    .sgpr_spill_count: 0
    .symbol:         _ZN7rocprim17ROCPRIM_400000_NS6detail17trampoline_kernelINS0_14default_configENS1_22reduce_config_selectorI11minmax_pairIiEEEZNS1_11reduce_implILb1ES3_N6thrust23THRUST_200600_302600_NS11hip_rocprim26transform_input_iterator_tIS6_NSA_6detail15normal_iteratorINSA_10device_ptrIiEEEE15minmax_unary_opIiEEEPS6_S6_16minmax_binary_opIiEEE10hipError_tPvRmT1_T2_T3_mT4_P12ihipStream_tbEUlT_E1_NS1_11comp_targetILNS1_3genE10ELNS1_11target_archE1201ELNS1_3gpuE5ELNS1_3repE0EEENS1_30default_config_static_selectorELNS0_4arch9wavefront6targetE0EEEvSR_.kd
    .uniform_work_group_size: 1
    .uses_dynamic_stack: false
    .vgpr_count:     0
    .vgpr_spill_count: 0
    .wavefront_size: 32
  - .args:
      - .offset:         0
        .size:           56
        .value_kind:     by_value
    .group_segment_fixed_size: 0
    .kernarg_segment_align: 8
    .kernarg_segment_size: 56
    .language:       OpenCL C
    .language_version:
      - 2
      - 0
    .max_flat_workgroup_size: 256
    .name:           _ZN7rocprim17ROCPRIM_400000_NS6detail17trampoline_kernelINS0_14default_configENS1_22reduce_config_selectorI11minmax_pairIiEEEZNS1_11reduce_implILb1ES3_N6thrust23THRUST_200600_302600_NS11hip_rocprim26transform_input_iterator_tIS6_NSA_6detail15normal_iteratorINSA_10device_ptrIiEEEE15minmax_unary_opIiEEEPS6_S6_16minmax_binary_opIiEEE10hipError_tPvRmT1_T2_T3_mT4_P12ihipStream_tbEUlT_E1_NS1_11comp_targetILNS1_3genE10ELNS1_11target_archE1200ELNS1_3gpuE4ELNS1_3repE0EEENS1_30default_config_static_selectorELNS0_4arch9wavefront6targetE0EEEvSR_
    .private_segment_fixed_size: 0
    .sgpr_count:     0
    .sgpr_spill_count: 0
    .symbol:         _ZN7rocprim17ROCPRIM_400000_NS6detail17trampoline_kernelINS0_14default_configENS1_22reduce_config_selectorI11minmax_pairIiEEEZNS1_11reduce_implILb1ES3_N6thrust23THRUST_200600_302600_NS11hip_rocprim26transform_input_iterator_tIS6_NSA_6detail15normal_iteratorINSA_10device_ptrIiEEEE15minmax_unary_opIiEEEPS6_S6_16minmax_binary_opIiEEE10hipError_tPvRmT1_T2_T3_mT4_P12ihipStream_tbEUlT_E1_NS1_11comp_targetILNS1_3genE10ELNS1_11target_archE1200ELNS1_3gpuE4ELNS1_3repE0EEENS1_30default_config_static_selectorELNS0_4arch9wavefront6targetE0EEEvSR_.kd
    .uniform_work_group_size: 1
    .uses_dynamic_stack: false
    .vgpr_count:     0
    .vgpr_spill_count: 0
    .wavefront_size: 32
  - .args:
      - .offset:         0
        .size:           56
        .value_kind:     by_value
    .group_segment_fixed_size: 0
    .kernarg_segment_align: 8
    .kernarg_segment_size: 56
    .language:       OpenCL C
    .language_version:
      - 2
      - 0
    .max_flat_workgroup_size: 256
    .name:           _ZN7rocprim17ROCPRIM_400000_NS6detail17trampoline_kernelINS0_14default_configENS1_22reduce_config_selectorI11minmax_pairIiEEEZNS1_11reduce_implILb1ES3_N6thrust23THRUST_200600_302600_NS11hip_rocprim26transform_input_iterator_tIS6_NSA_6detail15normal_iteratorINSA_10device_ptrIiEEEE15minmax_unary_opIiEEEPS6_S6_16minmax_binary_opIiEEE10hipError_tPvRmT1_T2_T3_mT4_P12ihipStream_tbEUlT_E1_NS1_11comp_targetILNS1_3genE9ELNS1_11target_archE1100ELNS1_3gpuE3ELNS1_3repE0EEENS1_30default_config_static_selectorELNS0_4arch9wavefront6targetE0EEEvSR_
    .private_segment_fixed_size: 0
    .sgpr_count:     0
    .sgpr_spill_count: 0
    .symbol:         _ZN7rocprim17ROCPRIM_400000_NS6detail17trampoline_kernelINS0_14default_configENS1_22reduce_config_selectorI11minmax_pairIiEEEZNS1_11reduce_implILb1ES3_N6thrust23THRUST_200600_302600_NS11hip_rocprim26transform_input_iterator_tIS6_NSA_6detail15normal_iteratorINSA_10device_ptrIiEEEE15minmax_unary_opIiEEEPS6_S6_16minmax_binary_opIiEEE10hipError_tPvRmT1_T2_T3_mT4_P12ihipStream_tbEUlT_E1_NS1_11comp_targetILNS1_3genE9ELNS1_11target_archE1100ELNS1_3gpuE3ELNS1_3repE0EEENS1_30default_config_static_selectorELNS0_4arch9wavefront6targetE0EEEvSR_.kd
    .uniform_work_group_size: 1
    .uses_dynamic_stack: false
    .vgpr_count:     0
    .vgpr_spill_count: 0
    .wavefront_size: 32
  - .args:
      - .offset:         0
        .size:           56
        .value_kind:     by_value
    .group_segment_fixed_size: 0
    .kernarg_segment_align: 8
    .kernarg_segment_size: 56
    .language:       OpenCL C
    .language_version:
      - 2
      - 0
    .max_flat_workgroup_size: 256
    .name:           _ZN7rocprim17ROCPRIM_400000_NS6detail17trampoline_kernelINS0_14default_configENS1_22reduce_config_selectorI11minmax_pairIiEEEZNS1_11reduce_implILb1ES3_N6thrust23THRUST_200600_302600_NS11hip_rocprim26transform_input_iterator_tIS6_NSA_6detail15normal_iteratorINSA_10device_ptrIiEEEE15minmax_unary_opIiEEEPS6_S6_16minmax_binary_opIiEEE10hipError_tPvRmT1_T2_T3_mT4_P12ihipStream_tbEUlT_E1_NS1_11comp_targetILNS1_3genE8ELNS1_11target_archE1030ELNS1_3gpuE2ELNS1_3repE0EEENS1_30default_config_static_selectorELNS0_4arch9wavefront6targetE0EEEvSR_
    .private_segment_fixed_size: 0
    .sgpr_count:     0
    .sgpr_spill_count: 0
    .symbol:         _ZN7rocprim17ROCPRIM_400000_NS6detail17trampoline_kernelINS0_14default_configENS1_22reduce_config_selectorI11minmax_pairIiEEEZNS1_11reduce_implILb1ES3_N6thrust23THRUST_200600_302600_NS11hip_rocprim26transform_input_iterator_tIS6_NSA_6detail15normal_iteratorINSA_10device_ptrIiEEEE15minmax_unary_opIiEEEPS6_S6_16minmax_binary_opIiEEE10hipError_tPvRmT1_T2_T3_mT4_P12ihipStream_tbEUlT_E1_NS1_11comp_targetILNS1_3genE8ELNS1_11target_archE1030ELNS1_3gpuE2ELNS1_3repE0EEENS1_30default_config_static_selectorELNS0_4arch9wavefront6targetE0EEEvSR_.kd
    .uniform_work_group_size: 1
    .uses_dynamic_stack: false
    .vgpr_count:     0
    .vgpr_spill_count: 0
    .wavefront_size: 32
amdhsa.target:   amdgcn-amd-amdhsa--gfx1250
amdhsa.version:
  - 1
  - 2
...

	.end_amdgpu_metadata
